;; amdgpu-corpus repo=ROCm/rocFFT kind=compiled arch=gfx906 opt=O3
	.text
	.amdgcn_target "amdgcn-amd-amdhsa--gfx906"
	.amdhsa_code_object_version 6
	.protected	fft_rtc_back_len975_factors_13_5_3_5_wgs_117_tpt_39_halfLds_sp_ip_CI_unitstride_sbrr_dirReg ; -- Begin function fft_rtc_back_len975_factors_13_5_3_5_wgs_117_tpt_39_halfLds_sp_ip_CI_unitstride_sbrr_dirReg
	.globl	fft_rtc_back_len975_factors_13_5_3_5_wgs_117_tpt_39_halfLds_sp_ip_CI_unitstride_sbrr_dirReg
	.p2align	8
	.type	fft_rtc_back_len975_factors_13_5_3_5_wgs_117_tpt_39_halfLds_sp_ip_CI_unitstride_sbrr_dirReg,@function
fft_rtc_back_len975_factors_13_5_3_5_wgs_117_tpt_39_halfLds_sp_ip_CI_unitstride_sbrr_dirReg: ; @fft_rtc_back_len975_factors_13_5_3_5_wgs_117_tpt_39_halfLds_sp_ip_CI_unitstride_sbrr_dirReg
; %bb.0:
	v_mul_u32_u24_e32 v1, 0x691, v0
	s_load_dwordx2 s[12:13], s[4:5], 0x50
	s_load_dwordx4 s[8:11], s[4:5], 0x0
	s_load_dwordx2 s[2:3], s[4:5], 0x18
	v_lshrrev_b32_e32 v1, 16, v1
	v_mad_u64_u32 v[56:57], s[0:1], s6, 3, v[1:2]
	v_mov_b32_e32 v3, 0
	s_waitcnt lgkmcnt(0)
	v_cmp_lt_u64_e64 s[0:1], s[10:11], 2
	v_mov_b32_e32 v57, v3
	v_mov_b32_e32 v1, 0
	;; [unrolled: 1-line block ×3, first 2 shown]
	s_and_b64 vcc, exec, s[0:1]
	v_mov_b32_e32 v2, 0
	v_mov_b32_e32 v8, v57
	s_cbranch_vccnz .LBB0_8
; %bb.1:
	s_load_dwordx2 s[0:1], s[4:5], 0x10
	s_add_u32 s6, s2, 8
	s_addc_u32 s7, s3, 0
	v_mov_b32_e32 v1, 0
	v_mov_b32_e32 v5, v56
	s_waitcnt lgkmcnt(0)
	s_add_u32 s16, s0, 8
	s_mov_b64 s[14:15], 1
	v_mov_b32_e32 v2, 0
	s_addc_u32 s17, s1, 0
	v_mov_b32_e32 v6, v57
.LBB0_2:                                ; =>This Inner Loop Header: Depth=1
	s_load_dwordx2 s[18:19], s[16:17], 0x0
                                        ; implicit-def: $vgpr7_vgpr8
	s_waitcnt lgkmcnt(0)
	v_or_b32_e32 v4, s19, v6
	v_cmp_ne_u64_e32 vcc, 0, v[3:4]
	s_and_saveexec_b64 s[0:1], vcc
	s_xor_b64 s[20:21], exec, s[0:1]
	s_cbranch_execz .LBB0_4
; %bb.3:                                ;   in Loop: Header=BB0_2 Depth=1
	v_cvt_f32_u32_e32 v4, s18
	v_cvt_f32_u32_e32 v7, s19
	s_sub_u32 s0, 0, s18
	s_subb_u32 s1, 0, s19
	v_mac_f32_e32 v4, 0x4f800000, v7
	v_rcp_f32_e32 v4, v4
	v_mul_f32_e32 v4, 0x5f7ffffc, v4
	v_mul_f32_e32 v7, 0x2f800000, v4
	v_trunc_f32_e32 v7, v7
	v_mac_f32_e32 v4, 0xcf800000, v7
	v_cvt_u32_f32_e32 v7, v7
	v_cvt_u32_f32_e32 v4, v4
	v_mul_lo_u32 v8, s0, v7
	v_mul_hi_u32 v9, s0, v4
	v_mul_lo_u32 v11, s1, v4
	v_mul_lo_u32 v10, s0, v4
	v_add_u32_e32 v8, v9, v8
	v_add_u32_e32 v8, v8, v11
	v_mul_hi_u32 v9, v4, v10
	v_mul_lo_u32 v11, v4, v8
	v_mul_hi_u32 v13, v4, v8
	v_mul_hi_u32 v12, v7, v10
	v_mul_lo_u32 v10, v7, v10
	v_mul_hi_u32 v14, v7, v8
	v_add_co_u32_e32 v9, vcc, v9, v11
	v_addc_co_u32_e32 v11, vcc, 0, v13, vcc
	v_mul_lo_u32 v8, v7, v8
	v_add_co_u32_e32 v9, vcc, v9, v10
	v_addc_co_u32_e32 v9, vcc, v11, v12, vcc
	v_addc_co_u32_e32 v10, vcc, 0, v14, vcc
	v_add_co_u32_e32 v8, vcc, v9, v8
	v_addc_co_u32_e32 v9, vcc, 0, v10, vcc
	v_add_co_u32_e32 v4, vcc, v4, v8
	v_addc_co_u32_e32 v7, vcc, v7, v9, vcc
	v_mul_lo_u32 v8, s0, v7
	v_mul_hi_u32 v9, s0, v4
	v_mul_lo_u32 v10, s1, v4
	v_mul_lo_u32 v11, s0, v4
	v_add_u32_e32 v8, v9, v8
	v_add_u32_e32 v8, v8, v10
	v_mul_lo_u32 v12, v4, v8
	v_mul_hi_u32 v13, v4, v11
	v_mul_hi_u32 v14, v4, v8
	;; [unrolled: 1-line block ×3, first 2 shown]
	v_mul_lo_u32 v11, v7, v11
	v_mul_hi_u32 v9, v7, v8
	v_add_co_u32_e32 v12, vcc, v13, v12
	v_addc_co_u32_e32 v13, vcc, 0, v14, vcc
	v_mul_lo_u32 v8, v7, v8
	v_add_co_u32_e32 v11, vcc, v12, v11
	v_addc_co_u32_e32 v10, vcc, v13, v10, vcc
	v_addc_co_u32_e32 v9, vcc, 0, v9, vcc
	v_add_co_u32_e32 v8, vcc, v10, v8
	v_addc_co_u32_e32 v9, vcc, 0, v9, vcc
	v_add_co_u32_e32 v4, vcc, v4, v8
	v_addc_co_u32_e32 v9, vcc, v7, v9, vcc
	v_mad_u64_u32 v[7:8], s[0:1], v5, v9, 0
	v_mul_hi_u32 v10, v5, v4
	v_add_co_u32_e32 v11, vcc, v10, v7
	v_addc_co_u32_e32 v12, vcc, 0, v8, vcc
	v_mad_u64_u32 v[7:8], s[0:1], v6, v4, 0
	v_mad_u64_u32 v[9:10], s[0:1], v6, v9, 0
	v_add_co_u32_e32 v4, vcc, v11, v7
	v_addc_co_u32_e32 v4, vcc, v12, v8, vcc
	v_addc_co_u32_e32 v7, vcc, 0, v10, vcc
	v_add_co_u32_e32 v4, vcc, v4, v9
	v_addc_co_u32_e32 v9, vcc, 0, v7, vcc
	v_mul_lo_u32 v10, s19, v4
	v_mul_lo_u32 v11, s18, v9
	v_mad_u64_u32 v[7:8], s[0:1], s18, v4, 0
	v_add3_u32 v8, v8, v11, v10
	v_sub_u32_e32 v10, v6, v8
	v_mov_b32_e32 v11, s19
	v_sub_co_u32_e32 v7, vcc, v5, v7
	v_subb_co_u32_e64 v10, s[0:1], v10, v11, vcc
	v_subrev_co_u32_e64 v11, s[0:1], s18, v7
	v_subbrev_co_u32_e64 v10, s[0:1], 0, v10, s[0:1]
	v_cmp_le_u32_e64 s[0:1], s19, v10
	v_cndmask_b32_e64 v12, 0, -1, s[0:1]
	v_cmp_le_u32_e64 s[0:1], s18, v11
	v_cndmask_b32_e64 v11, 0, -1, s[0:1]
	v_cmp_eq_u32_e64 s[0:1], s19, v10
	v_cndmask_b32_e64 v10, v12, v11, s[0:1]
	v_add_co_u32_e64 v11, s[0:1], 2, v4
	v_addc_co_u32_e64 v12, s[0:1], 0, v9, s[0:1]
	v_add_co_u32_e64 v13, s[0:1], 1, v4
	v_addc_co_u32_e64 v14, s[0:1], 0, v9, s[0:1]
	v_subb_co_u32_e32 v8, vcc, v6, v8, vcc
	v_cmp_ne_u32_e64 s[0:1], 0, v10
	v_cmp_le_u32_e32 vcc, s19, v8
	v_cndmask_b32_e64 v10, v14, v12, s[0:1]
	v_cndmask_b32_e64 v12, 0, -1, vcc
	v_cmp_le_u32_e32 vcc, s18, v7
	v_cndmask_b32_e64 v7, 0, -1, vcc
	v_cmp_eq_u32_e32 vcc, s19, v8
	v_cndmask_b32_e32 v7, v12, v7, vcc
	v_cmp_ne_u32_e32 vcc, 0, v7
	v_cndmask_b32_e64 v7, v13, v11, s[0:1]
	v_cndmask_b32_e32 v8, v9, v10, vcc
	v_cndmask_b32_e32 v7, v4, v7, vcc
.LBB0_4:                                ;   in Loop: Header=BB0_2 Depth=1
	s_andn2_saveexec_b64 s[0:1], s[20:21]
	s_cbranch_execz .LBB0_6
; %bb.5:                                ;   in Loop: Header=BB0_2 Depth=1
	v_cvt_f32_u32_e32 v4, s18
	s_sub_i32 s20, 0, s18
	v_rcp_iflag_f32_e32 v4, v4
	v_mul_f32_e32 v4, 0x4f7ffffe, v4
	v_cvt_u32_f32_e32 v4, v4
	v_mul_lo_u32 v7, s20, v4
	v_mul_hi_u32 v7, v4, v7
	v_add_u32_e32 v4, v4, v7
	v_mul_hi_u32 v4, v5, v4
	v_mul_lo_u32 v7, v4, s18
	v_add_u32_e32 v8, 1, v4
	v_sub_u32_e32 v7, v5, v7
	v_subrev_u32_e32 v9, s18, v7
	v_cmp_le_u32_e32 vcc, s18, v7
	v_cndmask_b32_e32 v7, v7, v9, vcc
	v_cndmask_b32_e32 v4, v4, v8, vcc
	v_add_u32_e32 v8, 1, v4
	v_cmp_le_u32_e32 vcc, s18, v7
	v_cndmask_b32_e32 v7, v4, v8, vcc
	v_mov_b32_e32 v8, v3
.LBB0_6:                                ;   in Loop: Header=BB0_2 Depth=1
	s_or_b64 exec, exec, s[0:1]
	v_mul_lo_u32 v4, v8, s18
	v_mul_lo_u32 v11, v7, s19
	v_mad_u64_u32 v[9:10], s[0:1], v7, s18, 0
	s_load_dwordx2 s[0:1], s[6:7], 0x0
	s_add_u32 s14, s14, 1
	v_add3_u32 v4, v10, v11, v4
	v_sub_co_u32_e32 v5, vcc, v5, v9
	v_subb_co_u32_e32 v4, vcc, v6, v4, vcc
	s_waitcnt lgkmcnt(0)
	v_mul_lo_u32 v4, s0, v4
	v_mul_lo_u32 v6, s1, v5
	v_mad_u64_u32 v[1:2], s[0:1], s0, v5, v[1:2]
	s_addc_u32 s15, s15, 0
	s_add_u32 s6, s6, 8
	v_add3_u32 v2, v6, v2, v4
	v_mov_b32_e32 v4, s10
	v_mov_b32_e32 v5, s11
	s_addc_u32 s7, s7, 0
	v_cmp_ge_u64_e32 vcc, s[14:15], v[4:5]
	s_add_u32 s16, s16, 8
	s_addc_u32 s17, s17, 0
	s_cbranch_vccnz .LBB0_8
; %bb.7:                                ;   in Loop: Header=BB0_2 Depth=1
	v_mov_b32_e32 v5, v7
	v_mov_b32_e32 v6, v8
	s_branch .LBB0_2
.LBB0_8:
	s_lshl_b64 s[0:1], s[10:11], 3
	s_add_u32 s0, s2, s0
	s_addc_u32 s1, s3, s1
	s_load_dwordx2 s[2:3], s[0:1], 0x0
	s_load_dwordx2 s[6:7], s[4:5], 0x20
                                        ; implicit-def: $vgpr45
                                        ; implicit-def: $vgpr51
                                        ; implicit-def: $vgpr47
                                        ; implicit-def: $vgpr41
                                        ; implicit-def: $vgpr37
                                        ; implicit-def: $vgpr33
                                        ; implicit-def: $vgpr31
                                        ; implicit-def: $vgpr9
                                        ; implicit-def: $vgpr11
                                        ; implicit-def: $vgpr13
                                        ; implicit-def: $vgpr15
                                        ; implicit-def: $vgpr17
                                        ; implicit-def: $vgpr29
                                        ; implicit-def: $vgpr27
                                        ; implicit-def: $vgpr25
                                        ; implicit-def: $vgpr23
                                        ; implicit-def: $vgpr21
                                        ; implicit-def: $vgpr19
                                        ; implicit-def: $vgpr55
                                        ; implicit-def: $vgpr53
                                        ; implicit-def: $vgpr49
                                        ; implicit-def: $vgpr43
                                        ; implicit-def: $vgpr39
                                        ; implicit-def: $vgpr35
	s_waitcnt lgkmcnt(0)
	v_mad_u64_u32 v[1:2], s[0:1], s2, v7, v[1:2]
	s_mov_b32 s0, 0x6906907
	v_mul_lo_u32 v3, s2, v8
	v_mul_lo_u32 v4, s3, v7
	v_mul_hi_u32 v5, v0, s0
	v_cmp_gt_u64_e64 s[0:1], s[6:7], v[7:8]
                                        ; implicit-def: $vgpr7
	v_add3_u32 v2, v4, v2, v3
	v_mul_u32_u24_e32 v3, 39, v5
	v_sub_u32_e32 v0, v0, v3
	v_lshlrev_b64 v[2:3], 3, v[1:2]
	v_mov_b32_e32 v5, 0
	v_mov_b32_e32 v1, 0
	s_and_saveexec_b64 s[2:3], s[0:1]
	s_cbranch_execz .LBB0_12
; %bb.9:
	v_mov_b32_e32 v1, 0
	v_mov_b32_e32 v4, s13
	v_add_co_u32_e32 v6, vcc, s12, v2
	v_addc_co_u32_e32 v7, vcc, v4, v3, vcc
	v_lshlrev_b64 v[4:5], 3, v[0:1]
	s_movk_i32 s4, 0x1000
	v_add_co_u32_e32 v57, vcc, v6, v4
	v_addc_co_u32_e32 v58, vcc, v7, v5, vcc
	v_add_co_u32_e32 v59, vcc, s4, v57
	global_load_dwordx2 v[44:45], v[57:58], off
	global_load_dwordx2 v[50:51], v[57:58], off offset:600
	global_load_dwordx2 v[46:47], v[57:58], off offset:1200
	;; [unrolled: 1-line block ×3, first 2 shown]
	v_addc_co_u32_e32 v60, vcc, 0, v58, vcc
	global_load_dwordx2 v[36:37], v[57:58], off offset:2400
	global_load_dwordx2 v[32:33], v[57:58], off offset:3000
	global_load_dwordx2 v[30:31], v[57:58], off offset:3600
	global_load_dwordx2 v[34:35], v[59:60], off offset:104
	global_load_dwordx2 v[38:39], v[59:60], off offset:704
	global_load_dwordx2 v[42:43], v[59:60], off offset:1304
	global_load_dwordx2 v[48:49], v[59:60], off offset:1904
	global_load_dwordx2 v[52:53], v[59:60], off offset:2504
	global_load_dwordx2 v[54:55], v[59:60], off offset:3104
	v_cmp_gt_u32_e32 vcc, 36, v0
	v_mov_b32_e32 v5, v1
                                        ; implicit-def: $vgpr18
                                        ; implicit-def: $vgpr20
                                        ; implicit-def: $vgpr22
                                        ; implicit-def: $vgpr24
                                        ; implicit-def: $vgpr26
                                        ; implicit-def: $vgpr28
                                        ; implicit-def: $vgpr16
                                        ; implicit-def: $vgpr14
                                        ; implicit-def: $vgpr12
                                        ; implicit-def: $vgpr10
                                        ; implicit-def: $vgpr8
                                        ; implicit-def: $vgpr6
	s_and_saveexec_b64 s[4:5], vcc
	s_cbranch_execz .LBB0_11
; %bb.10:
	global_load_dwordx2 v[4:5], v[57:58], off offset:312
	global_load_dwordx2 v[6:7], v[57:58], off offset:912
	;; [unrolled: 1-line block ×13, first 2 shown]
	s_waitcnt vmcnt(12)
	v_mov_b32_e32 v1, v4
.LBB0_11:
	s_or_b64 exec, exec, s[4:5]
.LBB0_12:
	s_or_b64 exec, exec, s[2:3]
	s_mov_b32 s2, 0xaaaaaaab
	v_mul_hi_u32 v4, v56, s2
	s_waitcnt vmcnt(0)
	v_sub_f32_e32 v58, v51, v55
	v_mul_f32_e32 v59, 0xbeedf032, v58
	v_sub_f32_e32 v61, v47, v53
	v_lshrrev_b32_e32 v4, 1, v4
	v_lshl_add_u32 v4, v4, 1, v4
	v_add_f32_e32 v57, v54, v50
	v_sub_u32_e32 v4, v56, v4
	v_mov_b32_e32 v56, v59
	v_mul_f32_e32 v62, 0xbf52af12, v61
	v_fmac_f32_e32 v56, 0x3f62ad3f, v57
	v_add_f32_e32 v60, v52, v46
	v_mov_b32_e32 v63, v62
	v_sub_f32_e32 v64, v41, v49
	v_add_f32_e32 v56, v56, v44
	v_fmac_f32_e32 v63, 0x3f116cb1, v60
	v_mul_f32_e32 v65, 0xbf7e222b, v64
	v_add_f32_e32 v56, v56, v63
	v_add_f32_e32 v63, v48, v40
	v_mov_b32_e32 v66, v65
	v_sub_f32_e32 v67, v37, v43
	v_fmac_f32_e32 v66, 0x3df6dbef, v63
	v_mul_f32_e32 v68, 0xbf6f5d39, v67
	v_add_f32_e32 v56, v56, v66
	v_add_f32_e32 v66, v42, v36
	v_mov_b32_e32 v69, v68
	v_sub_f32_e32 v70, v33, v39
	;; [unrolled: 6-line block ×3, first 2 shown]
	v_fmac_f32_e32 v72, 0xbf3f9e67, v69
	v_mul_f32_e32 v74, 0xbe750f2a, v73
	v_add_f32_e32 v56, v56, v72
	v_add_f32_e32 v72, v34, v30
	v_mov_b32_e32 v75, v74
	v_fmac_f32_e32 v75, 0xbf788fa5, v72
	v_add_f32_e32 v75, v56, v75
	v_add_f32_e32 v56, v44, v50
	;; [unrolled: 1-line block ×12, first 2 shown]
	v_mul_u32_u24_e32 v4, 0x3cf, v4
	v_add_f32_e32 v76, v54, v56
	v_mad_u32_u24 v56, v0, 52, 0
	v_lshl_add_u32 v56, v4, 2, v56
	ds_write2_b32 v56, v76, v75 offset1:1
	v_mul_f32_e32 v75, 0xbf52af12, v58
	v_mov_b32_e32 v76, v75
	v_mul_f32_e32 v77, 0xbf6f5d39, v61
	v_fmac_f32_e32 v76, 0x3f116cb1, v57
	v_mov_b32_e32 v78, v77
	v_add_f32_e32 v76, v76, v44
	v_fmac_f32_e32 v78, 0xbeb58ec6, v60
	v_add_f32_e32 v76, v76, v78
	v_mul_f32_e32 v78, 0xbf7e222b, v58
	v_mov_b32_e32 v79, v78
	v_mul_f32_e32 v80, 0xbe750f2a, v61
	v_fmac_f32_e32 v79, 0x3df6dbef, v57
	v_mov_b32_e32 v81, v80
	v_add_f32_e32 v79, v79, v44
	v_fmac_f32_e32 v81, 0xbf788fa5, v60
	v_add_f32_e32 v79, v79, v81
	v_mul_f32_e32 v81, 0xbe750f2a, v64
	v_mov_b32_e32 v82, v81
	v_fmac_f32_e32 v82, 0xbf788fa5, v63
	v_add_f32_e32 v76, v76, v82
	v_mul_f32_e32 v82, 0x3f6f5d39, v64
	v_mov_b32_e32 v83, v82
	;; [unrolled: 4-line block ×8, first 2 shown]
	v_fmac_f32_e32 v89, 0xbf3f9e67, v72
	v_add_f32_e32 v79, v79, v89
	ds_write2_b32 v56, v76, v79 offset0:2 offset1:3
	v_mul_f32_e32 v76, 0xbf6f5d39, v58
	v_mov_b32_e32 v79, v76
	v_mul_f32_e32 v89, 0x3f29c268, v61
	v_fmac_f32_e32 v79, 0xbeb58ec6, v57
	v_mov_b32_e32 v90, v89
	v_add_f32_e32 v79, v79, v44
	v_fmac_f32_e32 v90, 0xbf3f9e67, v60
	v_add_f32_e32 v79, v79, v90
	v_mul_f32_e32 v90, 0xbf29c268, v58
	v_mov_b32_e32 v91, v90
	v_mul_f32_e32 v92, 0x3f7e222b, v61
	v_fmac_f32_e32 v91, 0xbf3f9e67, v57
	v_mov_b32_e32 v93, v92
	v_add_f32_e32 v91, v91, v44
	v_fmac_f32_e32 v93, 0x3df6dbef, v60
	v_add_f32_e32 v91, v91, v93
	v_mul_f32_e32 v93, 0x3eedf032, v64
	v_mov_b32_e32 v94, v93
	v_fmac_f32_e32 v94, 0x3f62ad3f, v63
	v_add_f32_e32 v79, v79, v94
	v_mul_f32_e32 v94, 0xbf52af12, v64
	v_mov_b32_e32 v95, v94
	;; [unrolled: 4-line block ×8, first 2 shown]
	v_fmac_f32_e32 v101, 0xbeb58ec6, v72
	v_add_f32_e32 v91, v91, v101
	v_mul_f32_e32 v58, 0xbe750f2a, v58
	s_mov_b32 s11, 0xbf788fa5
	ds_write2_b32 v56, v79, v91 offset0:4 offset1:5
	v_mov_b32_e32 v79, v58
	v_mul_f32_e32 v61, 0x3eedf032, v61
	s_mov_b32 s4, 0x3f62ad3f
	v_fma_f32 v58, v57, s11, -v58
	v_mov_b32_e32 v91, v61
	v_add_f32_e32 v58, v58, v44
	v_fma_f32 v61, v60, s4, -v61
	v_add_f32_e32 v58, v58, v61
	v_mul_f32_e32 v61, 0xbf29c268, v64
	s_mov_b32 s5, 0xbf3f9e67
	v_fmac_f32_e32 v79, 0xbf788fa5, v57
	v_mov_b32_e32 v64, v61
	v_fma_f32 v61, v63, s5, -v61
	v_add_f32_e32 v79, v79, v44
	v_fmac_f32_e32 v91, 0x3f62ad3f, v60
	v_add_f32_e32 v58, v58, v61
	v_mul_f32_e32 v61, 0x3f52af12, v67
	s_mov_b32 s6, 0x3f116cb1
	v_add_f32_e32 v79, v79, v91
	v_fmac_f32_e32 v64, 0xbf3f9e67, v63
	v_mov_b32_e32 v67, v61
	v_fma_f32 v61, v66, s6, -v61
	v_add_f32_e32 v64, v79, v64
	v_fmac_f32_e32 v67, 0x3f116cb1, v66
	v_add_f32_e32 v58, v58, v61
	v_mul_f32_e32 v61, 0xbf6f5d39, v70
	s_mov_b32 s7, 0xbeb58ec6
	v_add_f32_e32 v64, v64, v67
	v_mov_b32_e32 v67, v61
	v_fma_f32 v61, v69, s7, -v61
	v_fmac_f32_e32 v67, 0xbeb58ec6, v69
	v_add_f32_e32 v58, v58, v61
	v_mul_f32_e32 v61, 0x3f7e222b, v73
	v_add_f32_e32 v64, v64, v67
	v_mov_b32_e32 v67, v61
	s_mov_b32 s10, 0x3df6dbef
	v_fmac_f32_e32 v67, 0x3df6dbef, v72
	v_fma_f32 v61, v72, s10, -v61
	v_add_f32_e32 v64, v64, v67
	v_add_f32_e32 v58, v58, v61
	ds_write2_b32 v56, v64, v58 offset0:6 offset1:7
	v_fma_f32 v58, v57, s4, -v59
	v_fma_f32 v59, v57, s6, -v75
	v_add_f32_e32 v58, v58, v44
	v_fma_f32 v62, v60, s6, -v62
	v_fma_f32 v61, v57, s10, -v78
	v_add_f32_e32 v58, v58, v62
	v_add_f32_e32 v59, v59, v44
	v_fma_f32 v62, v60, s7, -v77
	v_fma_f32 v64, v57, s7, -v76
	;; [unrolled: 1-line block ×3, first 2 shown]
	v_add_f32_e32 v59, v59, v62
	v_add_f32_e32 v61, v61, v44
	v_fma_f32 v62, v60, s11, -v80
	v_add_f32_e32 v61, v61, v62
	v_add_f32_e32 v62, v64, v44
	;; [unrolled: 1-line block ×3, first 2 shown]
	v_fma_f32 v57, v63, s10, -v65
	v_add_f32_e32 v57, v58, v57
	v_fma_f32 v58, v63, s11, -v81
	v_fma_f32 v64, v60, s5, -v89
	;; [unrolled: 1-line block ×3, first 2 shown]
	v_add_f32_e32 v58, v59, v58
	v_fma_f32 v59, v63, s7, -v82
	v_add_f32_e32 v44, v44, v60
	v_add_f32_e32 v59, v61, v59
	v_fma_f32 v61, v63, s6, -v94
	v_add_f32_e32 v44, v44, v61
	v_fma_f32 v61, v66, s7, -v68
	;; [unrolled: 2-line block ×5, first 2 shown]
	v_add_f32_e32 v60, v62, v60
	v_add_f32_e32 v59, v59, v61
	v_fma_f32 v61, v66, s10, -v95
	v_add_f32_e32 v60, v60, v61
	v_fma_f32 v61, v66, s11, -v96
	;; [unrolled: 2-line block ×12, first 2 shown]
	v_add_f32_e32 v44, v44, v60
	v_sub_f32_e32 v62, v7, v29
	v_add_f32_e32 v69, v6, v28
	ds_write2_b32 v56, v44, v59 offset0:8 offset1:9
	v_mul_f32_e32 v44, 0xbeedf032, v62
	ds_write2_b32 v56, v58, v57 offset0:10 offset1:11
	v_fma_f32 v57, v69, s4, -v44
	v_sub_f32_e32 v64, v9, v27
	v_add_f32_e32 v58, v1, v57
	v_add_f32_e32 v70, v8, v26
	v_mul_f32_e32 v57, 0xbf52af12, v64
	v_fma_f32 v59, v70, s6, -v57
	v_sub_f32_e32 v65, v11, v25
	v_add_f32_e32 v59, v58, v59
	v_add_f32_e32 v71, v10, v24
	v_mul_f32_e32 v58, 0xbf7e222b, v65
	;; [unrolled: 5-line block ×5, first 2 shown]
	v_fma_f32 v76, v74, s11, -v63
	v_add_f32_e32 v59, v59, v76
	v_cmp_gt_u32_e32 vcc, 36, v0
	ds_write_b32 v56, v75 offset:48
	s_and_saveexec_b64 s[2:3], vcc
	s_cbranch_execz .LBB0_14
; %bb.13:
	v_mul_f32_e32 v81, 0xbf788fa5, v69
	v_mov_b32_e32 v82, v81
	v_mul_f32_e32 v83, 0x3f62ad3f, v70
	v_fmac_f32_e32 v82, 0x3e750f2a, v62
	v_mov_b32_e32 v84, v83
	v_add_f32_e32 v82, v1, v82
	v_fmac_f32_e32 v84, 0xbeedf032, v64
	v_add_f32_e32 v82, v82, v84
	v_mul_f32_e32 v84, 0xbf3f9e67, v71
	v_mov_b32_e32 v85, v84
	v_fmac_f32_e32 v85, 0x3f29c268, v65
	v_add_f32_e32 v82, v82, v85
	v_mul_f32_e32 v85, 0x3f116cb1, v72
	v_fmac_f32_e32 v81, 0xbe750f2a, v62
	v_mov_b32_e32 v86, v85
	v_add_f32_e32 v81, v1, v81
	v_fmac_f32_e32 v83, 0x3eedf032, v64
	v_fmac_f32_e32 v86, 0xbf52af12, v66
	v_add_f32_e32 v81, v81, v83
	v_fmac_f32_e32 v84, 0xbf29c268, v65
	v_add_f32_e32 v82, v82, v86
	v_mul_f32_e32 v86, 0xbeb58ec6, v73
	v_add_f32_e32 v81, v81, v84
	v_fmac_f32_e32 v85, 0x3f52af12, v66
	v_mul_f32_e32 v83, 0xbf3f9e67, v69
	v_mov_b32_e32 v87, v86
	v_add_f32_e32 v81, v81, v85
	v_fmac_f32_e32 v86, 0xbf6f5d39, v67
	v_mov_b32_e32 v84, v83
	v_mul_f32_e32 v85, 0x3df6dbef, v70
	v_fmac_f32_e32 v87, 0x3f6f5d39, v67
	v_add_f32_e32 v81, v81, v86
	v_fmac_f32_e32 v84, 0x3f29c268, v62
	v_mov_b32_e32 v86, v85
	v_add_f32_e32 v82, v82, v87
	v_mul_f32_e32 v87, 0x3df6dbef, v74
	v_add_f32_e32 v84, v1, v84
	v_fmac_f32_e32 v86, 0xbf7e222b, v64
	v_mov_b32_e32 v88, v87
	v_fmac_f32_e32 v87, 0x3f7e222b, v68
	v_add_f32_e32 v84, v84, v86
	v_mul_f32_e32 v86, 0x3f116cb1, v71
	v_add_f32_e32 v81, v81, v87
	v_mov_b32_e32 v87, v86
	v_fmac_f32_e32 v87, 0x3f52af12, v65
	v_fmac_f32_e32 v88, 0xbf7e222b, v68
	v_add_f32_e32 v84, v84, v87
	v_mul_f32_e32 v87, 0xbf788fa5, v72
	v_fmac_f32_e32 v83, 0xbf29c268, v62
	v_add_f32_e32 v82, v82, v88
	v_mov_b32_e32 v88, v87
	v_add_f32_e32 v83, v1, v83
	v_fmac_f32_e32 v85, 0x3f7e222b, v64
	v_fmac_f32_e32 v88, 0xbe750f2a, v66
	v_add_f32_e32 v83, v83, v85
	v_fmac_f32_e32 v86, 0xbf52af12, v65
	v_add_f32_e32 v84, v84, v88
	v_mul_f32_e32 v88, 0x3f62ad3f, v73
	v_add_f32_e32 v83, v83, v86
	v_fmac_f32_e32 v87, 0x3e750f2a, v66
	v_mul_f32_e32 v85, 0xbeb58ec6, v69
	v_mov_b32_e32 v89, v88
	v_add_f32_e32 v83, v83, v87
	v_fmac_f32_e32 v88, 0x3eedf032, v67
	v_mov_b32_e32 v86, v85
	v_mul_f32_e32 v87, 0xbf3f9e67, v70
	v_fmac_f32_e32 v89, 0xbeedf032, v67
	v_add_f32_e32 v83, v83, v88
	v_fmac_f32_e32 v86, 0x3f6f5d39, v62
	v_mov_b32_e32 v88, v87
	v_add_f32_e32 v84, v84, v89
	v_mul_f32_e32 v89, 0xbeb58ec6, v74
	v_add_f32_e32 v86, v1, v86
	v_fmac_f32_e32 v88, 0xbf29c268, v64
	v_mov_b32_e32 v90, v89
	v_fmac_f32_e32 v89, 0xbf6f5d39, v68
	v_add_f32_e32 v86, v86, v88
	v_mul_f32_e32 v88, 0x3f62ad3f, v71
	v_add_f32_e32 v83, v83, v89
	v_mov_b32_e32 v89, v88
	v_fmac_f32_e32 v89, 0xbeedf032, v65
	v_fmac_f32_e32 v90, 0x3f6f5d39, v68
	v_add_f32_e32 v86, v86, v89
	v_mul_f32_e32 v89, 0x3df6dbef, v72
	v_fmac_f32_e32 v85, 0xbf6f5d39, v62
	v_add_f32_e32 v84, v84, v90
	v_mov_b32_e32 v90, v89
	v_add_f32_e32 v85, v1, v85
	v_fmac_f32_e32 v87, 0x3f29c268, v64
	v_fmac_f32_e32 v90, 0x3f7e222b, v66
	v_add_f32_e32 v85, v85, v87
	v_fmac_f32_e32 v88, 0x3eedf032, v65
	v_add_f32_e32 v86, v86, v90
	v_mul_f32_e32 v90, 0xbf788fa5, v73
	v_add_f32_e32 v85, v85, v88
	v_fmac_f32_e32 v89, 0xbf7e222b, v66
	v_mul_f32_e32 v87, 0x3df6dbef, v69
	v_mov_b32_e32 v91, v90
	v_add_f32_e32 v85, v85, v89
	v_fmac_f32_e32 v90, 0x3e750f2a, v67
	v_mov_b32_e32 v88, v87
	v_mul_f32_e32 v89, 0xbf788fa5, v70
	v_fmac_f32_e32 v87, 0xbf7e222b, v62
	v_mul_f32_e32 v75, 0x3f62ad3f, v69
	v_add_f32_e32 v85, v85, v90
	v_mov_b32_e32 v90, v89
	v_add_f32_e32 v87, v1, v87
	v_fmac_f32_e32 v89, 0xbe750f2a, v64
	v_mul_f32_e32 v69, 0x3f116cb1, v69
	v_add_f32_e32 v87, v87, v89
	v_mov_b32_e32 v89, v69
	v_fmac_f32_e32 v91, 0xbe750f2a, v67
	v_fmac_f32_e32 v88, 0x3f7e222b, v62
	;; [unrolled: 1-line block ×4, first 2 shown]
	v_add_f32_e32 v44, v44, v75
	v_add_f32_e32 v86, v86, v91
	v_mul_f32_e32 v91, 0x3f116cb1, v74
	v_add_f32_e32 v88, v1, v88
	v_fmac_f32_e32 v90, 0x3e750f2a, v64
	v_add_f32_e32 v89, v1, v89
	v_add_f32_e32 v62, v1, v69
	;; [unrolled: 1-line block ×4, first 2 shown]
	v_mov_b32_e32 v92, v91
	v_fmac_f32_e32 v91, 0x3f52af12, v68
	v_add_f32_e32 v88, v88, v90
	v_mul_f32_e32 v90, 0xbeb58ec6, v71
	v_add_f32_e32 v1, v1, v8
	v_mul_f32_e32 v76, 0x3f116cb1, v70
	v_add_f32_e32 v85, v85, v91
	v_mov_b32_e32 v91, v90
	v_fmac_f32_e32 v90, 0x3f6f5d39, v65
	v_mul_f32_e32 v70, 0xbeb58ec6, v70
	v_add_f32_e32 v1, v1, v10
	v_fmac_f32_e32 v91, 0xbf6f5d39, v65
	v_add_f32_e32 v87, v87, v90
	v_mov_b32_e32 v90, v70
	v_add_f32_e32 v1, v1, v12
	v_mul_f32_e32 v77, 0x3df6dbef, v71
	v_fmac_f32_e32 v92, 0xbf52af12, v68
	v_add_f32_e32 v88, v88, v91
	v_mul_f32_e32 v91, 0x3f62ad3f, v72
	v_fmac_f32_e32 v90, 0x3f6f5d39, v64
	v_mul_f32_e32 v71, 0xbf788fa5, v71
	v_add_f32_e32 v1, v1, v14
	v_add_f32_e32 v86, v86, v92
	v_mov_b32_e32 v92, v91
	v_add_f32_e32 v89, v89, v90
	v_mov_b32_e32 v90, v71
	v_add_f32_e32 v1, v1, v16
	v_mul_f32_e32 v78, 0xbeb58ec6, v72
	v_fmac_f32_e32 v92, 0xbeedf032, v66
	v_fmac_f32_e32 v90, 0x3e750f2a, v65
	v_mul_f32_e32 v72, 0xbf3f9e67, v72
	v_add_f32_e32 v57, v57, v76
	v_add_f32_e32 v1, v1, v18
	;; [unrolled: 1-line block ×3, first 2 shown]
	v_mul_f32_e32 v92, 0x3f116cb1, v73
	v_add_f32_e32 v89, v89, v90
	v_mov_b32_e32 v90, v72
	v_fmac_f32_e32 v70, 0xbf6f5d39, v64
	v_add_f32_e32 v44, v44, v57
	v_add_f32_e32 v57, v58, v77
	;; [unrolled: 1-line block ×3, first 2 shown]
	v_mul_f32_e32 v79, 0xbf3f9e67, v73
	v_mov_b32_e32 v93, v92
	v_fmac_f32_e32 v90, 0xbf29c268, v66
	v_mul_f32_e32 v73, 0x3df6dbef, v73
	v_add_f32_e32 v62, v62, v70
	v_fmac_f32_e32 v71, 0xbe750f2a, v65
	v_add_f32_e32 v44, v44, v57
	v_add_f32_e32 v57, v60, v78
	;; [unrolled: 1-line block ×3, first 2 shown]
	v_mul_f32_e32 v80, 0xbf788fa5, v74
	v_fmac_f32_e32 v93, 0x3f52af12, v67
	v_fmac_f32_e32 v91, 0x3eedf032, v66
	v_add_f32_e32 v89, v89, v90
	v_mov_b32_e32 v90, v73
	v_add_f32_e32 v62, v62, v71
	v_fmac_f32_e32 v72, 0x3f29c268, v66
	v_add_f32_e32 v44, v44, v57
	v_add_f32_e32 v57, v61, v79
	;; [unrolled: 1-line block ×4, first 2 shown]
	v_mul_f32_e32 v93, 0xbf3f9e67, v74
	v_add_f32_e32 v87, v87, v91
	v_fmac_f32_e32 v92, 0xbf52af12, v67
	v_fmac_f32_e32 v90, 0xbf7e222b, v67
	v_mul_f32_e32 v74, 0x3f62ad3f, v74
	v_add_f32_e32 v62, v62, v72
	v_fmac_f32_e32 v73, 0x3f7e222b, v67
	v_add_f32_e32 v44, v44, v57
	v_add_f32_e32 v57, v63, v80
	;; [unrolled: 1-line block ×3, first 2 shown]
	v_mov_b32_e32 v94, v93
	v_add_f32_e32 v87, v87, v92
	v_fmac_f32_e32 v93, 0xbf29c268, v68
	v_add_f32_e32 v89, v89, v90
	v_mov_b32_e32 v90, v74
	v_add_f32_e32 v62, v62, v73
	v_fmac_f32_e32 v74, 0x3eedf032, v68
	v_add_f32_e32 v44, v44, v57
	v_add_f32_e32 v1, v28, v1
	v_add_u32_e32 v57, 0x7ec, v56
	v_add_f32_e32 v87, v87, v93
	v_add_f32_e32 v62, v62, v74
	ds_write2_b32 v57, v1, v44 offset1:1
	v_add_u32_e32 v1, 0x7f4, v56
	ds_write2_b32 v1, v62, v87 offset1:1
	v_add_u32_e32 v1, 0x7fc, v56
	;; [unrolled: 2-line block ×3, first 2 shown]
	v_fmac_f32_e32 v94, 0x3f29c268, v68
	v_fmac_f32_e32 v90, 0xbeedf032, v68
	ds_write2_b32 v1, v81, v82 offset1:1
	v_add_u32_e32 v1, 0x80c, v56
	v_add_f32_e32 v88, v88, v94
	v_add_f32_e32 v89, v89, v90
	ds_write2_b32 v1, v84, v86 offset1:1
	v_add_u32_e32 v1, 0x814, v56
	ds_write2_b32 v1, v88, v89 offset1:1
	ds_write_b32 v56, v59 offset:2076
.LBB0_14:
	s_or_b64 exec, exec, s[2:3]
	v_add_f32_e32 v1, v45, v51
	v_add_f32_e32 v1, v1, v47
	;; [unrolled: 1-line block ×11, first 2 shown]
	v_sub_f32_e32 v44, v50, v54
	v_add_f32_e32 v72, v55, v1
	v_add_f32_e32 v1, v55, v51
	v_mul_f32_e32 v50, 0xbeedf032, v44
	v_mul_f32_e32 v54, 0xbf52af12, v44
	;; [unrolled: 1-line block ×6, first 2 shown]
	v_fma_f32 v51, v1, s4, -v50
	v_fmac_f32_e32 v50, 0x3f62ad3f, v1
	v_fma_f32 v55, v1, s6, -v54
	v_fmac_f32_e32 v54, 0x3f116cb1, v1
	;; [unrolled: 2-line block ×6, first 2 shown]
	v_add_f32_e32 v51, v51, v45
	v_add_f32_e32 v50, v50, v45
	;; [unrolled: 1-line block ×12, first 2 shown]
	v_sub_f32_e32 v45, v46, v52
	v_add_f32_e32 v44, v53, v47
	v_mul_f32_e32 v46, 0xbf52af12, v45
	v_fma_f32 v47, v44, s6, -v46
	v_fmac_f32_e32 v46, 0x3f116cb1, v44
	v_add_f32_e32 v46, v50, v46
	v_mul_f32_e32 v50, 0xbf6f5d39, v45
	v_add_f32_e32 v47, v51, v47
	v_fma_f32 v51, v44, s7, -v50
	v_fmac_f32_e32 v50, 0xbeb58ec6, v44
	v_mul_f32_e32 v52, 0xbe750f2a, v45
	v_add_f32_e32 v50, v54, v50
	v_fma_f32 v53, v44, s11, -v52
	v_fmac_f32_e32 v52, 0xbf788fa5, v44
	v_mul_f32_e32 v54, 0x3f29c268, v45
	v_add_f32_e32 v51, v55, v51
	v_add_f32_e32 v52, v57, v52
	v_fma_f32 v55, v44, s5, -v54
	v_fmac_f32_e32 v54, 0xbf3f9e67, v44
	v_mul_f32_e32 v57, 0x3f7e222b, v45
	v_mul_f32_e32 v45, 0x3eedf032, v45
	v_sub_f32_e32 v40, v40, v48
	v_add_f32_e32 v53, v58, v53
	v_add_f32_e32 v54, v60, v54
	v_fma_f32 v58, v44, s10, -v57
	v_fmac_f32_e32 v57, 0x3df6dbef, v44
	v_fma_f32 v60, v44, s4, -v45
	v_fmac_f32_e32 v45, 0x3f62ad3f, v44
	v_add_f32_e32 v41, v49, v41
	v_mul_f32_e32 v44, 0xbf7e222b, v40
	v_add_f32_e32 v1, v1, v45
	v_fma_f32 v45, v41, s10, -v44
	v_fmac_f32_e32 v44, 0x3df6dbef, v41
	v_add_f32_e32 v44, v46, v44
	v_mul_f32_e32 v46, 0xbe750f2a, v40
	v_add_f32_e32 v45, v47, v45
	v_fma_f32 v47, v41, s11, -v46
	v_fmac_f32_e32 v46, 0xbf788fa5, v41
	v_mul_f32_e32 v48, 0x3f6f5d39, v40
	v_add_f32_e32 v46, v50, v46
	v_fma_f32 v49, v41, s7, -v48
	v_fmac_f32_e32 v48, 0xbeb58ec6, v41
	v_mul_f32_e32 v50, 0x3eedf032, v40
	v_add_f32_e32 v47, v51, v47
	v_add_f32_e32 v48, v52, v48
	v_fma_f32 v51, v41, s4, -v50
	v_fmac_f32_e32 v50, 0x3f62ad3f, v41
	v_mul_f32_e32 v52, 0xbf52af12, v40
	v_mul_f32_e32 v40, 0xbf29c268, v40
	v_add_f32_e32 v50, v54, v50
	v_fma_f32 v54, v41, s5, -v40
	v_fmac_f32_e32 v40, 0xbf3f9e67, v41
	v_sub_f32_e32 v36, v36, v42
	v_add_f32_e32 v1, v1, v40
	v_add_f32_e32 v37, v43, v37
	v_mul_f32_e32 v40, 0xbf6f5d39, v36
	v_add_f32_e32 v49, v53, v49
	v_fma_f32 v53, v41, s6, -v52
	v_fmac_f32_e32 v52, 0x3f116cb1, v41
	v_fma_f32 v41, v37, s7, -v40
	v_fmac_f32_e32 v40, 0xbeb58ec6, v37
	v_mul_f32_e32 v42, 0x3f29c268, v36
	v_add_f32_e32 v40, v44, v40
	v_fma_f32 v43, v37, s5, -v42
	v_fmac_f32_e32 v42, 0xbf3f9e67, v37
	v_mul_f32_e32 v44, 0x3eedf032, v36
	v_add_f32_e32 v41, v45, v41
	v_add_f32_e32 v42, v46, v42
	v_fma_f32 v45, v37, s4, -v44
	v_fmac_f32_e32 v44, 0x3f62ad3f, v37
	v_mul_f32_e32 v46, 0xbf7e222b, v36
	v_add_f32_e32 v43, v47, v43
	v_add_f32_e32 v44, v48, v44
	v_fma_f32 v47, v37, s10, -v46
	v_fmac_f32_e32 v46, 0x3df6dbef, v37
	v_mul_f32_e32 v48, 0x3e750f2a, v36
	v_mul_f32_e32 v36, 0x3f52af12, v36
	v_add_f32_e32 v46, v50, v46
	v_fma_f32 v50, v37, s6, -v36
	v_fmac_f32_e32 v36, 0x3f116cb1, v37
	v_sub_f32_e32 v32, v32, v38
	v_add_f32_e32 v1, v1, v36
	v_add_f32_e32 v33, v39, v33
	v_mul_f32_e32 v36, 0xbf29c268, v32
	v_add_f32_e32 v45, v49, v45
	v_fma_f32 v49, v37, s11, -v48
	v_fmac_f32_e32 v48, 0xbf788fa5, v37
	v_fma_f32 v37, v33, s5, -v36
	v_fmac_f32_e32 v36, 0xbf3f9e67, v33
	v_mul_f32_e32 v38, 0x3f7e222b, v32
	v_add_f32_e32 v36, v40, v36
	v_fma_f32 v39, v33, s10, -v38
	v_fmac_f32_e32 v38, 0x3df6dbef, v33
	v_mul_f32_e32 v40, 0xbf52af12, v32
	v_add_f32_e32 v37, v41, v37
	v_add_f32_e32 v38, v42, v38
	v_fma_f32 v41, v33, s6, -v40
	v_fmac_f32_e32 v40, 0x3f116cb1, v33
	v_mul_f32_e32 v42, 0x3e750f2a, v32
	v_add_f32_e32 v39, v43, v39
	v_add_f32_e32 v40, v44, v40
	v_fma_f32 v43, v33, s11, -v42
	v_fmac_f32_e32 v42, 0xbf788fa5, v33
	v_mul_f32_e32 v44, 0x3eedf032, v32
	v_mul_f32_e32 v32, 0xbf6f5d39, v32
	v_add_f32_e32 v42, v46, v42
	v_fma_f32 v46, v33, s7, -v32
	v_fmac_f32_e32 v32, 0xbeb58ec6, v33
	v_sub_f32_e32 v30, v30, v34
	v_add_f32_e32 v1, v1, v32
	v_add_f32_e32 v31, v35, v31
	v_mul_f32_e32 v32, 0xbe750f2a, v30
	v_add_f32_e32 v41, v45, v41
	v_fma_f32 v45, v33, s4, -v44
	v_fmac_f32_e32 v44, 0x3f62ad3f, v33
	v_fma_f32 v33, v31, s11, -v32
	v_fmac_f32_e32 v32, 0xbf788fa5, v31
	v_add_f32_e32 v74, v36, v32
	v_mul_f32_e32 v32, 0x3eedf032, v30
	v_add_f32_e32 v73, v37, v33
	v_fma_f32 v33, v31, s4, -v32
	v_fmac_f32_e32 v32, 0x3f62ad3f, v31
	v_add_f32_e32 v76, v38, v32
	v_mul_f32_e32 v32, 0xbf29c268, v30
	v_add_f32_e32 v55, v61, v55
	v_add_f32_e32 v75, v39, v33
	v_fma_f32 v33, v31, s5, -v32
	v_fmac_f32_e32 v32, 0xbf3f9e67, v31
	v_add_f32_e32 v57, v62, v57
	v_add_f32_e32 v51, v55, v51
	;; [unrolled: 1-line block ×3, first 2 shown]
	v_mul_f32_e32 v32, 0x3f52af12, v30
	v_add_f32_e32 v52, v57, v52
	v_add_f32_e32 v47, v51, v47
	;; [unrolled: 1-line block ×3, first 2 shown]
	v_fma_f32 v33, v31, s6, -v32
	v_fmac_f32_e32 v32, 0x3f116cb1, v31
	v_add_f32_e32 v48, v52, v48
	v_add_f32_e32 v43, v47, v43
	;; [unrolled: 1-line block ×3, first 2 shown]
	v_mul_f32_e32 v32, 0xbf6f5d39, v30
	v_add_f32_e32 v44, v48, v44
	v_add_f32_e32 v79, v43, v33
	v_fma_f32 v33, v31, s7, -v32
	v_fmac_f32_e32 v32, 0xbeb58ec6, v31
	v_mul_f32_e32 v30, 0x3f7e222b, v30
	v_sub_f32_e32 v69, v6, v28
	v_add_f32_e32 v82, v44, v32
	v_fma_f32 v32, v31, s10, -v30
	v_fmac_f32_e32 v30, 0x3df6dbef, v31
	v_mul_f32_e32 v71, 0xbeedf032, v69
	v_sub_f32_e32 v66, v8, v26
	v_add_f32_e32 v84, v1, v30
	v_add_f32_e32 v68, v7, v29
	v_mov_b32_e32 v1, v71
	v_mul_f32_e32 v70, 0xbf52af12, v66
	v_add_f32_e32 v58, v63, v58
	v_add_f32_e32 v60, v64, v60
	v_fmac_f32_e32 v1, 0x3f62ad3f, v68
	v_add_f32_e32 v65, v9, v27
	v_mov_b32_e32 v6, v70
	v_sub_f32_e32 v63, v10, v24
	v_add_f32_e32 v54, v60, v54
	v_add_f32_e32 v1, v5, v1
	v_fmac_f32_e32 v6, 0x3f116cb1, v65
	v_mul_f32_e32 v67, 0xbf7e222b, v63
	v_add_f32_e32 v50, v54, v50
	v_add_f32_e32 v1, v1, v6
	;; [unrolled: 1-line block ×3, first 2 shown]
	v_mov_b32_e32 v6, v67
	v_sub_f32_e32 v54, v12, v22
	v_fmac_f32_e32 v6, 0x3df6dbef, v62
	v_mul_f32_e32 v64, 0xbf6f5d39, v54
	v_add_f32_e32 v1, v1, v6
	v_add_f32_e32 v28, v13, v23
	v_mov_b32_e32 v6, v64
	v_sub_f32_e32 v26, v14, v20
	v_fmac_f32_e32 v6, 0xbeb58ec6, v28
	v_mul_f32_e32 v55, 0xbf29c268, v26
	v_add_f32_e32 v1, v1, v6
	v_add_f32_e32 v24, v15, v21
	v_mov_b32_e32 v6, v55
	v_sub_f32_e32 v14, v16, v18
	v_fmac_f32_e32 v6, 0xbf3f9e67, v24
	v_mul_f32_e32 v16, 0xbe750f2a, v14
	v_lshlrev_b32_e32 v60, 2, v4
	v_lshlrev_b32_e32 v4, 2, v0
	v_add_f32_e32 v53, v58, v53
	v_add_f32_e32 v1, v1, v6
	;; [unrolled: 1-line block ×3, first 2 shown]
	v_mov_b32_e32 v6, v16
	v_add_u32_e32 v8, 0, v4
	v_add_f32_e32 v49, v53, v49
	v_fmac_f32_e32 v6, 0xbf788fa5, v12
	v_add_u32_e32 v57, v8, v60
	v_add_f32_e32 v45, v49, v45
	v_add_f32_e32 v46, v50, v46
	;; [unrolled: 1-line block ×3, first 2 shown]
	v_add3_u32 v1, 0, v60, v4
	v_add_u32_e32 v8, 0x400, v57
	v_add_u32_e32 v18, 0x800, v57
	;; [unrolled: 1-line block ×4, first 2 shown]
	v_add_f32_e32 v81, v45, v33
	v_add_f32_e32 v83, v46, v32
	s_waitcnt lgkmcnt(0)
	s_barrier
	ds_read_b32 v6, v1
	ds_read2_b32 v[50:51], v57 offset0:195 offset1:234
	ds_read2_b32 v[38:39], v8 offset0:95 offset1:134
	;; [unrolled: 1-line block ×10, first 2 shown]
	v_add_u32_e32 v10, 0x600, v57
	ds_read2_b32 v[40:41], v10 offset0:123 offset1:162
	ds_read2_b32 v[36:37], v22 offset0:129 offset1:168
	v_add_u32_e32 v58, 39, v0
	s_waitcnt lgkmcnt(0)
	s_barrier
	ds_write2_b32 v56, v72, v73 offset1:1
	ds_write2_b32 v56, v75, v77 offset0:2 offset1:3
	ds_write2_b32 v56, v79, v81 offset0:4 offset1:5
	;; [unrolled: 1-line block ×5, first 2 shown]
	ds_write_b32 v56, v74 offset:48
	s_and_saveexec_b64 s[2:3], vcc
	s_cbranch_execz .LBB0_16
; %bb.15:
	v_add_f32_e32 v7, v5, v7
	v_add_f32_e32 v7, v7, v9
	;; [unrolled: 1-line block ×10, first 2 shown]
	v_mul_f32_e32 v56, 0x3f62ad3f, v68
	v_add_f32_e32 v7, v27, v7
	v_mul_f32_e32 v11, 0xbf52af12, v69
	s_mov_b32 s4, 0x3f116cb1
	v_mul_f32_e32 v15, 0xbf7e222b, v69
	s_mov_b32 s5, 0x3df6dbef
	;; [unrolled: 2-line block ×5, first 2 shown]
	v_mul_f32_e32 v72, 0x3f116cb1, v65
	v_add_f32_e32 v7, v29, v7
	v_sub_f32_e32 v9, v56, v71
	v_fma_f32 v13, v68, s4, -v11
	v_fmac_f32_e32 v11, 0x3f116cb1, v68
	v_fma_f32 v17, v68, s5, -v15
	v_fmac_f32_e32 v15, 0x3df6dbef, v68
	;; [unrolled: 2-line block ×5, first 2 shown]
	v_add_f32_e32 v9, v5, v9
	v_add_f32_e32 v13, v5, v13
	;; [unrolled: 1-line block ×11, first 2 shown]
	v_sub_f32_e32 v27, v72, v70
	v_add_f32_e32 v9, v9, v27
	v_mul_f32_e32 v27, 0xbf6f5d39, v66
	v_fma_f32 v56, v65, s6, -v27
	v_fmac_f32_e32 v27, 0xbeb58ec6, v65
	v_add_f32_e32 v11, v11, v27
	v_mul_f32_e32 v27, 0xbe750f2a, v66
	v_add_f32_e32 v13, v13, v56
	v_fma_f32 v56, v65, s10, -v27
	v_fmac_f32_e32 v27, 0xbf788fa5, v65
	v_add_f32_e32 v15, v15, v27
	v_mul_f32_e32 v27, 0x3f29c268, v66
	v_add_f32_e32 v17, v17, v56
	;; [unrolled: 5-line block ×3, first 2 shown]
	v_fma_f32 v56, v65, s5, -v27
	v_fmac_f32_e32 v27, 0x3df6dbef, v65
	v_add_f32_e32 v23, v23, v27
	v_mul_f32_e32 v27, 0x3eedf032, v66
	s_mov_b32 s11, 0x3f62ad3f
	v_mul_f32_e32 v73, 0x3df6dbef, v62
	v_add_f32_e32 v25, v25, v56
	v_fma_f32 v56, v65, s11, -v27
	v_fmac_f32_e32 v27, 0x3f62ad3f, v65
	v_add_f32_e32 v5, v5, v27
	v_sub_f32_e32 v27, v73, v67
	v_add_f32_e32 v9, v9, v27
	v_mul_f32_e32 v27, 0xbe750f2a, v63
	v_add_f32_e32 v29, v29, v56
	v_fma_f32 v56, v62, s10, -v27
	v_fmac_f32_e32 v27, 0xbf788fa5, v62
	v_add_f32_e32 v11, v11, v27
	v_mul_f32_e32 v27, 0x3f6f5d39, v63
	v_add_f32_e32 v13, v13, v56
	v_fma_f32 v56, v62, s6, -v27
	v_fmac_f32_e32 v27, 0xbeb58ec6, v62
	;; [unrolled: 5-line block ×4, first 2 shown]
	v_add_f32_e32 v23, v23, v27
	v_mul_f32_e32 v27, 0xbf29c268, v63
	v_mul_f32_e32 v74, 0xbeb58ec6, v28
	v_add_f32_e32 v25, v25, v56
	v_fma_f32 v56, v62, s7, -v27
	v_fmac_f32_e32 v27, 0xbf3f9e67, v62
	v_add_f32_e32 v5, v5, v27
	v_sub_f32_e32 v27, v74, v64
	v_add_f32_e32 v9, v9, v27
	v_mul_f32_e32 v27, 0x3f29c268, v54
	v_add_f32_e32 v29, v29, v56
	v_fma_f32 v56, v28, s7, -v27
	v_fmac_f32_e32 v27, 0xbf3f9e67, v28
	v_add_f32_e32 v11, v11, v27
	v_mul_f32_e32 v27, 0x3eedf032, v54
	v_add_f32_e32 v13, v13, v56
	v_fma_f32 v56, v28, s11, -v27
	v_fmac_f32_e32 v27, 0x3f62ad3f, v28
	v_add_f32_e32 v15, v15, v27
	v_mul_f32_e32 v27, 0xbf7e222b, v54
	v_add_f32_e32 v17, v17, v56
	v_fma_f32 v56, v28, s5, -v27
	v_fmac_f32_e32 v27, 0x3df6dbef, v28
	v_add_f32_e32 v19, v19, v27
	v_mul_f32_e32 v27, 0x3e750f2a, v54
	v_add_f32_e32 v21, v21, v56
	v_fma_f32 v56, v28, s10, -v27
	v_fmac_f32_e32 v27, 0xbf788fa5, v28
	v_add_f32_e32 v23, v23, v27
	v_mul_f32_e32 v27, 0x3f52af12, v54
	v_mul_f32_e32 v75, 0xbf3f9e67, v24
	v_fma_f32 v54, v28, s4, -v27
	v_fmac_f32_e32 v27, 0x3f116cb1, v28
	v_add_f32_e32 v5, v5, v27
	v_sub_f32_e32 v27, v75, v55
	v_add_f32_e32 v9, v9, v27
	v_mul_f32_e32 v27, 0x3f7e222b, v26
	v_fma_f32 v28, v24, s5, -v27
	v_fmac_f32_e32 v27, 0x3df6dbef, v24
	v_add_f32_e32 v11, v11, v27
	v_mul_f32_e32 v27, 0xbf52af12, v26
	v_add_f32_e32 v13, v13, v28
	v_fma_f32 v28, v24, s4, -v27
	v_fmac_f32_e32 v27, 0x3f116cb1, v24
	v_add_f32_e32 v15, v15, v27
	v_mul_f32_e32 v27, 0x3e750f2a, v26
	v_mul_f32_e32 v76, 0xbf788fa5, v12
	v_add_f32_e32 v17, v17, v28
	v_fma_f32 v28, v24, s10, -v27
	v_fmac_f32_e32 v27, 0xbf788fa5, v24
	v_add_f32_e32 v19, v19, v27
	v_mul_f32_e32 v27, 0x3eedf032, v26
	v_sub_f32_e32 v16, v76, v16
	v_add_f32_e32 v21, v21, v28
	v_fma_f32 v28, v24, s11, -v27
	v_fmac_f32_e32 v27, 0x3f62ad3f, v24
	v_mul_f32_e32 v26, 0xbf6f5d39, v26
	v_add_f32_e32 v9, v9, v16
	v_mul_f32_e32 v16, 0x3eedf032, v14
	v_add_f32_e32 v23, v23, v27
	v_fma_f32 v27, v24, s6, -v26
	v_fmac_f32_e32 v26, 0xbeb58ec6, v24
	v_fma_f32 v24, v12, s11, -v16
	v_fmac_f32_e32 v16, 0x3f62ad3f, v12
	v_add_f32_e32 v11, v11, v16
	v_mul_f32_e32 v16, 0xbf29c268, v14
	v_add_f32_e32 v13, v13, v24
	v_fma_f32 v24, v12, s7, -v16
	v_fmac_f32_e32 v16, 0xbf3f9e67, v12
	v_add_f32_e32 v15, v15, v16
	v_mul_f32_e32 v16, 0x3f52af12, v14
	v_add_f32_e32 v17, v17, v24
	;; [unrolled: 5-line block ×3, first 2 shown]
	v_fma_f32 v24, v12, s6, -v19
	v_fmac_f32_e32 v19, 0xbeb58ec6, v12
	v_mul_f32_e32 v14, 0x3f7e222b, v14
	v_add_f32_e32 v25, v25, v56
	v_add_f32_e32 v29, v29, v54
	;; [unrolled: 1-line block ×3, first 2 shown]
	v_fma_f32 v23, v12, s5, -v14
	v_fmac_f32_e32 v14, 0x3df6dbef, v12
	v_mul_u32_u24_e32 v12, 52, v58
	v_add_f32_e32 v25, v25, v28
	v_add_f32_e32 v27, v29, v27
	;; [unrolled: 1-line block ×3, first 2 shown]
	v_add3_u32 v12, 0, v12, v60
	v_add_f32_e32 v24, v25, v24
	v_add_f32_e32 v23, v27, v23
	;; [unrolled: 1-line block ×3, first 2 shown]
	ds_write2_b32 v12, v7, v9 offset1:1
	ds_write2_b32 v12, v13, v17 offset0:2 offset1:3
	ds_write2_b32 v12, v21, v24 offset0:4 offset1:5
	;; [unrolled: 1-line block ×5, first 2 shown]
	ds_write_b32 v12, v61 offset:48
.LBB0_16:
	s_or_b64 exec, exec, s[2:3]
	s_movk_i32 s2, 0x4f
	v_mul_lo_u16_sdwa v5, v0, s2 dst_sel:DWORD dst_unused:UNUSED_PAD src0_sel:BYTE_0 src1_sel:DWORD
	v_lshrrev_b16_e32 v5, 10, v5
	v_mul_lo_u16_e32 v7, 13, v5
	v_sub_u16_e32 v7, v0, v7
	v_mov_b32_e32 v9, 5
	v_lshlrev_b32_sdwa v11, v9, v7 dst_sel:DWORD dst_unused:UNUSED_PAD src0_sel:DWORD src1_sel:BYTE_0
	s_waitcnt lgkmcnt(0)
	s_barrier
	global_load_dwordx4 v[23:26], v11, s[8:9]
	global_load_dwordx4 v[62:65], v11, s[8:9] offset:16
	v_mul_lo_u16_sdwa v11, v58, s2 dst_sel:DWORD dst_unused:UNUSED_PAD src0_sel:BYTE_0 src1_sel:DWORD
	v_lshrrev_b16_e32 v29, 10, v11
	v_mul_lo_u16_e32 v11, 13, v29
	v_sub_u16_e32 v19, v58, v11
	v_lshlrev_b32_sdwa v11, v9, v19 dst_sel:DWORD dst_unused:UNUSED_PAD src0_sel:DWORD src1_sel:BYTE_0
	v_add_u32_e32 v56, 0x4e, v0
	global_load_dwordx4 v[66:69], v11, s[8:9]
	global_load_dwordx4 v[87:90], v11, s[8:9] offset:16
	v_mul_lo_u16_sdwa v11, v56, s2 dst_sel:DWORD dst_unused:UNUSED_PAD src0_sel:BYTE_0 src1_sel:DWORD
	v_lshrrev_b16_e32 v127, 10, v11
	v_mul_lo_u16_e32 v11, 13, v127
	v_sub_u16_e32 v21, v56, v11
	v_lshlrev_b32_sdwa v11, v9, v21 dst_sel:DWORD dst_unused:UNUSED_PAD src0_sel:DWORD src1_sel:BYTE_0
	v_add_u32_e32 v55, 0x75, v0
	;; [unrolled: 8-line block ×3, first 2 shown]
	global_load_dwordx4 v[99:102], v13, s[8:9]
	ds_read_b32 v17, v1
	ds_read2_b32 v[11:12], v57 offset0:195 offset1:234
	global_load_dwordx4 v[103:106], v13, s[8:9] offset:16
	v_mul_lo_u16_sdwa v13, v54, s2 dst_sel:DWORD dst_unused:UNUSED_PAD src0_sel:BYTE_0 src1_sel:DWORD
	v_lshrrev_b16_e32 v130, 10, v13
	v_mul_lo_u16_e32 v13, 13, v130
	v_sub_u16_e32 v131, v54, v13
	v_lshlrev_b32_sdwa v9, v9, v131 dst_sel:DWORD dst_unused:UNUSED_PAD src0_sel:DWORD src1_sel:BYTE_0
	ds_read2_b32 v[27:28], v8 offset0:95 offset1:134
	ds_read2_b32 v[71:72], v18 offset0:73 offset1:112
	global_load_dwordx4 v[107:110], v9, s[8:9] offset:16
	global_load_dwordx4 v[111:114], v9, s[8:9]
	ds_read2_b32 v[115:116], v20 offset0:101 offset1:140
	ds_read2_b32 v[15:16], v57 offset0:39 offset1:78
	;; [unrolled: 1-line block ×9, first 2 shown]
	v_mov_b32_e32 v132, 2
	v_lshlrev_b32_sdwa v133, v132, v19 dst_sel:DWORD dst_unused:UNUSED_PAD src0_sel:DWORD src1_sel:BYTE_0
	s_movk_i32 s2, 0x104
	v_lshlrev_b32_sdwa v7, v132, v7 dst_sel:DWORD dst_unused:UNUSED_PAD src0_sel:DWORD src1_sel:BYTE_0
	v_mad_u32_u24 v5, v5, s2, 0
	s_waitcnt vmcnt(0) lgkmcnt(0)
	s_barrier
	v_cmp_gt_u32_e32 vcc, 13, v0
	v_mul_f32_e32 v84, v11, v24
	v_mul_f32_e32 v19, v50, v24
	;; [unrolled: 1-line block ×10, first 2 shown]
	v_fma_f32 v79, v11, v23, -v19
	v_mul_f32_e32 v19, v53, v88
	v_fma_f32 v70, v12, v66, -v65
	v_fmac_f32_e32 v83, v39, v25
	v_mul_f32_e32 v12, v44, v92
	v_mul_f32_e32 v76, v117, v69
	;; [unrolled: 1-line block ×4, first 2 shown]
	v_fmac_f32_e32 v85, v52, v62
	v_fmac_f32_e32 v75, v51, v66
	v_fma_f32 v72, v72, v87, -v19
	v_fma_f32 v51, v121, v91, -v12
	v_mul_f32_e32 v12, v49, v94
	v_mul_f32_e32 v69, v123, v96
	;; [unrolled: 1-line block ×3, first 2 shown]
	v_fma_f32 v80, v28, v25, -v24
	v_fma_f32 v82, v116, v64, -v63
	v_fmac_f32_e32 v76, v48, v68
	v_mul_f32_e32 v67, v121, v92
	v_fma_f32 v63, v118, v93, -v12
	v_fmac_f32_e32 v69, v42, v95
	v_mul_f32_e32 v12, v42, v96
	v_fma_f32 v42, v122, v99, -v19
	v_mul_f32_e32 v48, v9, v102
	v_mul_f32_e32 v19, v40, v102
	v_add_f32_e32 v25, v83, v85
	v_fma_f32 v81, v71, v62, -v26
	v_fma_f32 v71, v117, v68, -v11
	v_mul_f32_e32 v11, v46, v90
	v_fmac_f32_e32 v67, v44, v91
	v_fmac_f32_e32 v48, v40, v101
	v_fma_f32 v44, v9, v101, -v19
	v_mul_f32_e32 v19, v38, v112
	v_mul_f32_e32 v40, v10, v114
	v_fma_f32 v25, -0.5, v25, v6
	v_fmac_f32_e32 v84, v50, v23
	v_fmac_f32_e32 v86, v35, v64
	v_fma_f32 v74, v119, v89, -v11
	v_lshlrev_b32_sdwa v11, v132, v21 dst_sel:DWORD dst_unused:UNUSED_PAD src0_sel:DWORD src1_sel:BYTE_0
	v_mul_f32_e32 v39, v27, v112
	v_fma_f32 v19, v27, v111, -v19
	v_fmac_f32_e32 v40, v41, v113
	v_mul_f32_e32 v21, v41, v114
	v_mul_f32_e32 v41, v115, v108
	v_sub_f32_e32 v26, v79, v82
	v_mov_b32_e32 v27, v25
	v_fma_f32 v21, v10, v113, -v21
	v_fmac_f32_e32 v41, v34, v107
	v_mul_f32_e32 v10, v34, v108
	v_fmac_f32_e32 v27, 0xbf737871, v26
	v_sub_f32_e32 v28, v80, v81
	v_sub_f32_e32 v34, v84, v83
	;; [unrolled: 1-line block ×3, first 2 shown]
	v_fmac_f32_e32 v25, 0x3f737871, v26
	v_fmac_f32_e32 v27, 0xbf167918, v28
	v_add_f32_e32 v34, v34, v35
	v_fmac_f32_e32 v25, 0x3f167918, v28
	v_fma_f32 v23, v115, v107, -v10
	v_mul_f32_e32 v10, v37, v110
	v_fmac_f32_e32 v27, 0x3e9e377a, v34
	v_fmac_f32_e32 v25, 0x3e9e377a, v34
	v_add_f32_e32 v34, v84, v86
	v_fma_f32 v24, v126, v109, -v10
	v_add_f32_e32 v10, v6, v84
	v_fmac_f32_e32 v6, -0.5, v34
	v_fmac_f32_e32 v77, v53, v87
	v_mul_f32_e32 v62, v124, v104
	v_mul_f32_e32 v9, v43, v104
	;; [unrolled: 1-line block ×3, first 2 shown]
	v_mov_b32_e32 v34, v6
	v_fmac_f32_e32 v62, v43, v103
	v_fma_f32 v43, v124, v103, -v9
	v_fmac_f32_e32 v65, v36, v105
	v_mul_f32_e32 v9, v36, v106
	v_fmac_f32_e32 v34, 0x3f737871, v28
	v_sub_f32_e32 v35, v83, v84
	v_sub_f32_e32 v36, v85, v86
	v_fmac_f32_e32 v6, 0xbf737871, v28
	v_add_f32_e32 v28, v76, v77
	v_mul_f32_e32 v78, v119, v90
	v_fmac_f32_e32 v34, 0xbf167918, v26
	v_add_f32_e32 v35, v35, v36
	v_fmac_f32_e32 v6, 0x3f167918, v26
	v_fma_f32 v28, -0.5, v28, v32
	v_fmac_f32_e32 v78, v46, v89
	v_mul_f32_e32 v68, v118, v94
	v_mul_f32_e32 v46, v126, v110
	v_fmac_f32_e32 v34, 0x3e9e377a, v35
	v_fmac_f32_e32 v6, 0x3e9e377a, v35
	v_sub_f32_e32 v35, v70, v74
	v_mov_b32_e32 v36, v28
	v_fmac_f32_e32 v68, v49, v93
	v_fmac_f32_e32 v39, v38, v111
	;; [unrolled: 1-line block ×4, first 2 shown]
	v_sub_f32_e32 v37, v71, v72
	v_sub_f32_e32 v38, v75, v76
	;; [unrolled: 1-line block ×3, first 2 shown]
	v_fmac_f32_e32 v28, 0x3f737871, v35
	v_fmac_f32_e32 v36, 0xbf167918, v37
	v_add_f32_e32 v38, v38, v49
	v_fmac_f32_e32 v28, 0x3f167918, v37
	v_fmac_f32_e32 v36, 0x3e9e377a, v38
	;; [unrolled: 1-line block ×3, first 2 shown]
	v_add_f32_e32 v38, v75, v78
	v_add_f32_e32 v26, v32, v75
	v_fma_f32 v32, -0.5, v38, v32
	v_mov_b32_e32 v38, v32
	v_fma_f32 v64, v123, v95, -v12
	v_mul_f32_e32 v12, v47, v98
	v_fmac_f32_e32 v38, 0x3f737871, v37
	v_sub_f32_e32 v49, v76, v75
	v_sub_f32_e32 v50, v77, v78
	v_fmac_f32_e32 v32, 0xbf737871, v37
	v_add_f32_e32 v37, v68, v69
	v_mul_f32_e32 v73, v120, v98
	v_fma_f32 v66, v120, v97, -v12
	v_fmac_f32_e32 v38, 0xbf167918, v35
	v_add_f32_e32 v49, v49, v50
	v_fmac_f32_e32 v32, 0x3f167918, v35
	v_fma_f32 v37, -0.5, v37, v33
	v_fmac_f32_e32 v73, v47, v97
	v_fmac_f32_e32 v38, 0x3e9e377a, v49
	;; [unrolled: 1-line block ×3, first 2 shown]
	v_sub_f32_e32 v49, v51, v66
	v_mov_b32_e32 v50, v37
	v_fmac_f32_e32 v50, 0xbf737871, v49
	v_sub_f32_e32 v52, v63, v64
	v_sub_f32_e32 v53, v67, v68
	;; [unrolled: 1-line block ×3, first 2 shown]
	v_fmac_f32_e32 v37, 0x3f737871, v49
	v_fmac_f32_e32 v50, 0xbf167918, v52
	v_add_f32_e32 v53, v53, v87
	v_fmac_f32_e32 v37, 0x3f167918, v52
	v_fmac_f32_e32 v50, 0x3e9e377a, v53
	;; [unrolled: 1-line block ×3, first 2 shown]
	v_add_f32_e32 v53, v67, v73
	v_add_f32_e32 v35, v33, v67
	v_fmac_f32_e32 v33, -0.5, v53
	v_mul_f32_e32 v47, v122, v100
	v_mov_b32_e32 v53, v33
	v_fmac_f32_e32 v47, v45, v99
	v_fmac_f32_e32 v53, 0x3f737871, v52
	;; [unrolled: 1-line block ×5, first 2 shown]
	v_add_f32_e32 v49, v30, v47
	v_add_f32_e32 v49, v49, v48
	;; [unrolled: 1-line block ×5, first 2 shown]
	v_fma_f32 v45, v125, v105, -v9
	v_sub_f32_e32 v87, v68, v67
	v_sub_f32_e32 v88, v69, v73
	v_fma_f32 v91, -0.5, v49, v30
	v_add_f32_e32 v87, v87, v88
	v_sub_f32_e32 v49, v42, v45
	v_mov_b32_e32 v92, v91
	v_fmac_f32_e32 v53, 0x3e9e377a, v87
	v_fmac_f32_e32 v33, 0x3e9e377a, v87
	;; [unrolled: 1-line block ×3, first 2 shown]
	v_sub_f32_e32 v87, v44, v43
	v_sub_f32_e32 v88, v47, v48
	;; [unrolled: 1-line block ×3, first 2 shown]
	v_fmac_f32_e32 v91, 0x3f737871, v49
	v_fmac_f32_e32 v92, 0xbf167918, v87
	v_add_f32_e32 v88, v88, v89
	v_fmac_f32_e32 v91, 0x3f167918, v87
	v_fmac_f32_e32 v92, 0x3e9e377a, v88
	;; [unrolled: 1-line block ×3, first 2 shown]
	v_add_f32_e32 v88, v47, v65
	v_fma_f32 v30, -0.5, v88, v30
	v_mov_b32_e32 v93, v30
	v_fmac_f32_e32 v93, 0x3f737871, v87
	v_fmac_f32_e32 v30, 0xbf737871, v87
	;; [unrolled: 1-line block ×4, first 2 shown]
	v_add_f32_e32 v49, v31, v39
	v_add_f32_e32 v49, v49, v40
	;; [unrolled: 1-line block ×5, first 2 shown]
	v_sub_f32_e32 v88, v48, v47
	v_sub_f32_e32 v89, v62, v65
	v_fma_f32 v49, -0.5, v49, v31
	v_add_f32_e32 v88, v88, v89
	v_sub_f32_e32 v87, v19, v24
	v_mov_b32_e32 v95, v49
	v_fmac_f32_e32 v93, 0x3e9e377a, v88
	v_fmac_f32_e32 v30, 0x3e9e377a, v88
	;; [unrolled: 1-line block ×3, first 2 shown]
	v_sub_f32_e32 v88, v21, v23
	v_sub_f32_e32 v89, v39, v40
	;; [unrolled: 1-line block ×3, first 2 shown]
	v_fmac_f32_e32 v49, 0x3f737871, v87
	v_fmac_f32_e32 v95, 0xbf167918, v88
	v_add_f32_e32 v89, v89, v90
	v_fmac_f32_e32 v49, 0x3f167918, v88
	v_fmac_f32_e32 v95, 0x3e9e377a, v89
	;; [unrolled: 1-line block ×3, first 2 shown]
	v_add_f32_e32 v89, v39, v46
	v_fmac_f32_e32 v31, -0.5, v89
	v_mov_b32_e32 v96, v31
	v_fmac_f32_e32 v96, 0x3f737871, v88
	v_fmac_f32_e32 v31, 0xbf737871, v88
	;; [unrolled: 1-line block ×3, first 2 shown]
	v_sub_f32_e32 v89, v40, v39
	v_sub_f32_e32 v90, v41, v46
	v_fmac_f32_e32 v31, 0x3f167918, v87
	v_add3_u32 v87, v5, v7, v60
	v_mad_u32_u24 v5, v29, s2, 0
	v_add_f32_e32 v10, v10, v83
	v_add_f32_e32 v26, v26, v76
	;; [unrolled: 1-line block ×4, first 2 shown]
	v_add3_u32 v88, v5, v133, v60
	v_mad_u32_u24 v5, v127, s2, 0
	v_lshlrev_b32_sdwa v12, v132, v129 dst_sel:DWORD dst_unused:UNUSED_PAD src0_sel:DWORD src1_sel:BYTE_0
	v_add_f32_e32 v10, v10, v85
	v_add_f32_e32 v26, v26, v77
	;; [unrolled: 1-line block ×3, first 2 shown]
	v_fmac_f32_e32 v96, 0x3e9e377a, v89
	v_fmac_f32_e32 v31, 0x3e9e377a, v89
	v_add3_u32 v89, v5, v11, v60
	v_mad_u32_u24 v5, v128, s2, 0
	v_lshlrev_b32_sdwa v9, v132, v131 dst_sel:DWORD dst_unused:UNUSED_PAD src0_sel:DWORD src1_sel:BYTE_0
	v_add_f32_e32 v10, v10, v86
	v_add_f32_e32 v26, v26, v78
	v_add_f32_e32 v35, v35, v73
	v_add3_u32 v90, v5, v12, v60
	v_mad_u32_u24 v5, v130, s2, 0
	ds_write2_b32 v87, v10, v27 offset1:13
	ds_write2_b32 v87, v34, v6 offset0:26 offset1:39
	ds_write_b32 v87, v25 offset:208
	ds_write2_b32 v88, v26, v36 offset1:13
	ds_write2_b32 v88, v38, v32 offset0:26 offset1:39
	ds_write_b32 v88, v28 offset:208
	;; [unrolled: 3-line block ×4, first 2 shown]
	v_add3_u32 v91, v5, v9, v60
	ds_write2_b32 v91, v94, v95 offset1:13
	ds_write2_b32 v91, v96, v31 offset0:26 offset1:39
	ds_write_b32 v91, v49 offset:208
	s_waitcnt lgkmcnt(0)
	s_barrier
	ds_read2_b32 v[5:6], v8 offset0:17 offset1:69
	ds_read2_b32 v[25:26], v18 offset0:86 offset1:138
	;; [unrolled: 1-line block ×11, first 2 shown]
	ds_read_b32 v50, v1
	ds_read_b32 v53, v57 offset:3692
                                        ; implicit-def: $vgpr52
	s_and_saveexec_b64 s[2:3], vcc
	s_cbranch_execz .LBB0_18
; %bb.17:
	ds_read_b32 v49, v57 offset:1248
	ds_read_b32 v59, v57 offset:2548
	ds_read_b32 v52, v57 offset:3848
.LBB0_18:
	s_or_b64 exec, exec, s[2:3]
	v_add_f32_e32 v20, v80, v81
	v_fma_f32 v20, -0.5, v20, v17
	v_sub_f32_e32 v22, v84, v86
	v_mov_b32_e32 v84, v20
	v_fmac_f32_e32 v84, 0x3f737871, v22
	v_sub_f32_e32 v83, v83, v85
	v_sub_f32_e32 v85, v79, v80
	;; [unrolled: 1-line block ×3, first 2 shown]
	v_fmac_f32_e32 v20, 0xbf737871, v22
	v_fmac_f32_e32 v84, 0x3f167918, v83
	v_add_f32_e32 v85, v85, v86
	v_fmac_f32_e32 v20, 0xbf167918, v83
	v_fmac_f32_e32 v84, 0x3e9e377a, v85
	;; [unrolled: 1-line block ×3, first 2 shown]
	v_add_f32_e32 v85, v79, v82
	v_add_f32_e32 v18, v17, v79
	v_fmac_f32_e32 v17, -0.5, v85
	v_mov_b32_e32 v85, v17
	v_add_f32_e32 v18, v18, v80
	v_fmac_f32_e32 v85, 0xbf737871, v83
	v_sub_f32_e32 v79, v80, v79
	v_sub_f32_e32 v80, v81, v82
	v_fmac_f32_e32 v17, 0x3f737871, v83
	v_fmac_f32_e32 v85, 0x3f167918, v22
	v_add_f32_e32 v79, v79, v80
	v_fmac_f32_e32 v17, 0xbf167918, v22
	v_fmac_f32_e32 v85, 0x3e9e377a, v79
	;; [unrolled: 1-line block ×3, first 2 shown]
	v_add_f32_e32 v79, v71, v72
	v_fma_f32 v79, -0.5, v79, v15
	v_sub_f32_e32 v75, v75, v78
	v_mov_b32_e32 v78, v79
	v_fmac_f32_e32 v78, 0x3f737871, v75
	v_sub_f32_e32 v76, v76, v77
	v_sub_f32_e32 v77, v70, v71
	;; [unrolled: 1-line block ×3, first 2 shown]
	v_fmac_f32_e32 v79, 0xbf737871, v75
	v_add_f32_e32 v22, v15, v70
	v_fmac_f32_e32 v78, 0x3f167918, v76
	v_add_f32_e32 v77, v77, v80
	;; [unrolled: 2-line block ×3, first 2 shown]
	v_fmac_f32_e32 v78, 0x3e9e377a, v77
	v_fmac_f32_e32 v79, 0x3e9e377a, v77
	v_add_f32_e32 v77, v70, v74
	v_sub_f32_e32 v70, v71, v70
	v_sub_f32_e32 v71, v72, v74
	v_add_f32_e32 v70, v70, v71
	v_add_f32_e32 v71, v63, v64
	v_fma_f32 v71, -0.5, v71, v16
	v_add_f32_e32 v22, v22, v72
	v_fma_f32 v15, -0.5, v77, v15
	v_sub_f32_e32 v67, v67, v73
	v_mov_b32_e32 v72, v71
	v_mov_b32_e32 v77, v15
	v_fmac_f32_e32 v72, 0x3f737871, v67
	v_sub_f32_e32 v68, v68, v69
	v_sub_f32_e32 v69, v51, v63
	;; [unrolled: 1-line block ×3, first 2 shown]
	v_fmac_f32_e32 v71, 0xbf737871, v67
	v_fmac_f32_e32 v77, 0xbf737871, v76
	;; [unrolled: 1-line block ×4, first 2 shown]
	v_add_f32_e32 v69, v69, v73
	v_fmac_f32_e32 v71, 0xbf167918, v68
	v_fmac_f32_e32 v77, 0x3f167918, v75
	;; [unrolled: 1-line block ×5, first 2 shown]
	v_add_f32_e32 v69, v51, v66
	v_fmac_f32_e32 v77, 0x3e9e377a, v70
	v_fmac_f32_e32 v15, 0x3e9e377a, v70
	v_add_f32_e32 v70, v16, v51
	v_fmac_f32_e32 v16, -0.5, v69
	v_mov_b32_e32 v69, v16
	v_add_f32_e32 v70, v70, v63
	v_fmac_f32_e32 v69, 0xbf737871, v68
	v_sub_f32_e32 v51, v63, v51
	v_sub_f32_e32 v63, v64, v66
	v_fmac_f32_e32 v16, 0x3f737871, v68
	v_fmac_f32_e32 v69, 0x3f167918, v67
	v_add_f32_e32 v51, v51, v63
	v_fmac_f32_e32 v16, 0xbf167918, v67
	v_fmac_f32_e32 v69, 0x3e9e377a, v51
	v_fmac_f32_e32 v16, 0x3e9e377a, v51
	v_add_f32_e32 v51, v13, v42
	v_add_f32_e32 v51, v51, v44
	;; [unrolled: 1-line block ×6, first 2 shown]
	v_fma_f32 v64, -0.5, v51, v13
	v_sub_f32_e32 v47, v47, v65
	v_mov_b32_e32 v65, v64
	v_fmac_f32_e32 v65, 0x3f737871, v47
	v_sub_f32_e32 v48, v48, v62
	v_sub_f32_e32 v51, v42, v44
	;; [unrolled: 1-line block ×3, first 2 shown]
	v_fmac_f32_e32 v64, 0xbf737871, v47
	v_fmac_f32_e32 v65, 0x3f167918, v48
	v_add_f32_e32 v51, v51, v62
	v_fmac_f32_e32 v64, 0xbf167918, v48
	v_fmac_f32_e32 v65, 0x3e9e377a, v51
	;; [unrolled: 1-line block ×3, first 2 shown]
	v_add_f32_e32 v51, v42, v45
	v_sub_f32_e32 v42, v44, v42
	v_sub_f32_e32 v43, v43, v45
	v_add_f32_e32 v42, v42, v43
	v_add_f32_e32 v43, v21, v23
	v_fma_f32 v13, -0.5, v51, v13
	v_fma_f32 v51, -0.5, v43, v14
	v_sub_f32_e32 v39, v39, v46
	v_mov_b32_e32 v43, v51
	v_mov_b32_e32 v62, v13
	v_fmac_f32_e32 v43, 0x3f737871, v39
	v_sub_f32_e32 v40, v40, v41
	v_sub_f32_e32 v41, v19, v21
	;; [unrolled: 1-line block ×3, first 2 shown]
	v_fmac_f32_e32 v51, 0xbf737871, v39
	v_fmac_f32_e32 v62, 0xbf737871, v48
	;; [unrolled: 1-line block ×4, first 2 shown]
	v_add_f32_e32 v41, v41, v44
	v_fmac_f32_e32 v51, 0xbf167918, v40
	v_fmac_f32_e32 v62, 0x3f167918, v47
	;; [unrolled: 1-line block ×5, first 2 shown]
	v_add_f32_e32 v41, v19, v24
	v_fmac_f32_e32 v62, 0x3e9e377a, v42
	v_fmac_f32_e32 v13, 0x3e9e377a, v42
	v_add_f32_e32 v42, v14, v19
	v_fmac_f32_e32 v14, -0.5, v41
	v_mov_b32_e32 v41, v14
	v_add_f32_e32 v18, v18, v81
	v_add_f32_e32 v42, v42, v21
	v_fmac_f32_e32 v41, 0xbf737871, v40
	v_sub_f32_e32 v19, v21, v19
	v_sub_f32_e32 v21, v23, v24
	v_fmac_f32_e32 v14, 0x3f737871, v40
	v_add_f32_e32 v18, v18, v82
	v_add_f32_e32 v42, v42, v23
	v_fmac_f32_e32 v41, 0x3f167918, v39
	v_add_f32_e32 v19, v19, v21
	v_fmac_f32_e32 v14, 0xbf167918, v39
	v_add_f32_e32 v22, v22, v74
	v_add_f32_e32 v70, v70, v66
	;; [unrolled: 1-line block ×3, first 2 shown]
	v_fmac_f32_e32 v41, 0x3e9e377a, v19
	v_fmac_f32_e32 v14, 0x3e9e377a, v19
	s_waitcnt lgkmcnt(0)
	s_barrier
	ds_write2_b32 v87, v18, v84 offset1:13
	ds_write2_b32 v87, v85, v17 offset0:26 offset1:39
	ds_write_b32 v87, v20 offset:208
	ds_write2_b32 v88, v22, v78 offset1:13
	ds_write2_b32 v88, v77, v15 offset0:26 offset1:39
	ds_write_b32 v88, v79 offset:208
	;; [unrolled: 3-line block ×5, first 2 shown]
	v_add_u32_e32 v15, 0x400, v57
	v_add_u32_e32 v16, 0x800, v57
	s_waitcnt lgkmcnt(0)
	s_barrier
	ds_read2_b32 v[17:18], v15 offset0:17 offset1:69
	ds_read2_b32 v[13:14], v16 offset0:86 offset1:138
	;; [unrolled: 1-line block ×7, first 2 shown]
	v_add_u32_e32 v15, 0xa00, v57
	ds_read2_b32 v[41:42], v15 offset0:127 offset1:166
	ds_read2_b32 v[19:20], v57 offset0:195 offset1:234
	;; [unrolled: 1-line block ×3, first 2 shown]
	v_add_u32_e32 v15, 0xc00, v57
	ds_read2_b32 v[15:16], v15 offset0:77 offset1:116
	ds_read_b32 v62, v1
	ds_read_b32 v64, v57 offset:3692
                                        ; implicit-def: $vgpr63
	s_and_saveexec_b64 s[2:3], vcc
	s_cbranch_execz .LBB0_20
; %bb.19:
	ds_read_b32 v51, v57 offset:1248
	ds_read_b32 v61, v57 offset:2548
	;; [unrolled: 1-line block ×3, first 2 shown]
.LBB0_20:
	s_or_b64 exec, exec, s[2:3]
	v_lshlrev_b32_e32 v70, 1, v0
	v_mov_b32_e32 v71, 0
	v_lshlrev_b64 v[65:66], 3, v[70:71]
	v_mov_b32_e32 v74, s9
	v_add_co_u32_e64 v65, s[2:3], s8, v65
	v_addc_co_u32_e64 v66, s[2:3], v74, v66, s[2:3]
	global_load_dwordx4 v[66:69], v[65:66], off offset:416
	v_subrev_u32_e32 v65, 26, v0
	v_cmp_gt_u32_e64 s[2:3], 26, v0
	v_cndmask_b32_e64 v105, v65, v58, s[2:3]
	v_lshlrev_b32_e32 v72, 1, v105
	v_mov_b32_e32 v73, v71
	v_lshlrev_b64 v[72:73], 3, v[72:73]
	v_add_u32_e32 v70, 26, v70
	v_add_co_u32_e64 v81, s[2:3], s8, v72
	v_lshlrev_b64 v[70:71], 3, v[70:71]
	v_addc_co_u32_e64 v82, s[2:3], v74, v73, s[2:3]
	v_add_co_u32_e64 v70, s[2:3], s8, v70
	v_addc_co_u32_e64 v71, s[2:3], v74, v71, s[2:3]
	s_movk_i32 s2, 0xfd
	v_mul_lo_u16_sdwa v65, v55, s2 dst_sel:DWORD dst_unused:UNUSED_PAD src0_sel:BYTE_0 src1_sel:DWORD
	v_lshrrev_b16_e32 v106, 14, v65
	v_mul_lo_u16_e32 v65, 0x41, v106
	v_sub_u16_e32 v107, v55, v65
	v_mov_b32_e32 v65, 4
	global_load_dwordx4 v[73:76], v[70:71], off offset:416
	global_load_dwordx4 v[77:80], v[81:82], off offset:416
	v_lshlrev_b32_sdwa v70, v65, v107 dst_sel:DWORD dst_unused:UNUSED_PAD src0_sel:DWORD src1_sel:BYTE_0
	global_load_dwordx4 v[81:84], v70, s[8:9] offset:416
	v_mul_lo_u16_sdwa v70, v54, s2 dst_sel:DWORD dst_unused:UNUSED_PAD src0_sel:BYTE_0 src1_sel:DWORD
	v_lshrrev_b16_e32 v70, 14, v70
	v_mul_lo_u16_e32 v70, 0x41, v70
	v_sub_u16_e32 v108, v54, v70
	v_lshlrev_b32_sdwa v70, v65, v108 dst_sel:DWORD dst_unused:UNUSED_PAD src0_sel:DWORD src1_sel:BYTE_0
	global_load_dwordx4 v[85:88], v70, s[8:9] offset:416
	v_add_u16_e32 v70, 0xc3, v0
	v_mul_lo_u16_sdwa v71, v70, s2 dst_sel:DWORD dst_unused:UNUSED_PAD src0_sel:BYTE_0 src1_sel:DWORD
	v_lshrrev_b16_e32 v71, 14, v71
	v_mul_lo_u16_e32 v71, 0x41, v71
	v_sub_u16_e32 v109, v70, v71
	v_lshlrev_b32_sdwa v65, v65, v109 dst_sel:DWORD dst_unused:UNUSED_PAD src0_sel:DWORD src1_sel:BYTE_0
	global_load_dwordx4 v[89:92], v65, s[8:9] offset:416
	v_add_u32_e32 v65, 0xea, v0
	s_movk_i32 s2, 0xfc1
	v_mul_u32_u24_sdwa v70, v65, s2 dst_sel:DWORD dst_unused:UNUSED_PAD src0_sel:WORD_0 src1_sel:DWORD
	v_lshrrev_b32_e32 v110, 18, v70
	v_mul_lo_u16_e32 v70, 0x41, v110
	v_sub_u16_e32 v111, v65, v70
	v_lshlrev_b32_e32 v65, 4, v111
	global_load_dwordx4 v[93:96], v65, s[8:9] offset:416
	v_add_u32_e32 v65, 0x111, v0
	v_mul_u32_u24_sdwa v70, v65, s2 dst_sel:DWORD dst_unused:UNUSED_PAD src0_sel:WORD_0 src1_sel:DWORD
	v_lshrrev_b32_e32 v70, 18, v70
	v_mul_lo_u16_e32 v70, 0x41, v70
	v_sub_u16_e32 v112, v65, v70
	v_lshlrev_b32_e32 v65, 4, v112
	global_load_dwordx4 v[97:100], v65, s[8:9] offset:416
	v_add_u32_e32 v65, 0x138, v0
	v_mul_u32_u24_sdwa v70, v65, s2 dst_sel:DWORD dst_unused:UNUSED_PAD src0_sel:WORD_0 src1_sel:DWORD
	v_lshrrev_b32_e32 v70, 18, v70
	v_mul_lo_u16_e32 v70, 0x41, v70
	v_sub_u16_e32 v113, v65, v70
	v_lshlrev_b32_e32 v65, 4, v113
	global_load_dwordx4 v[101:104], v65, s[8:9] offset:416
	s_waitcnt vmcnt(0) lgkmcnt(0)
	s_barrier
	v_cmp_lt_u32_e64 s[2:3], 25, v0
	s_movk_i32 s4, 0x30c
	v_mul_f32_e32 v65, v18, v67
	v_mul_f32_e32 v70, v6, v67
	v_fmac_f32_e32 v65, v6, v66
	v_mul_f32_e32 v67, v14, v69
	v_mul_f32_e32 v71, v26, v69
	v_fma_f32 v69, v18, v66, -v70
	v_fmac_f32_e32 v67, v26, v68
	v_fma_f32 v71, v14, v68, -v71
	v_mul_f32_e32 v14, v48, v74
	v_mul_f32_e32 v6, v37, v78
	v_fma_f32 v70, v47, v77, -v6
	v_mul_f32_e32 v6, v38, v74
	v_mul_f32_e32 v66, v47, v78
	;; [unrolled: 3-line block ×4, first 2 shown]
	v_fmac_f32_e32 v68, v35, v79
	v_mul_f32_e32 v35, v43, v82
	v_fma_f32 v43, v43, v81, -v6
	v_mul_f32_e32 v6, v31, v84
	v_fma_f32 v72, v45, v79, -v18
	;; [unrolled: 2-line block ×3, first 2 shown]
	v_mul_f32_e32 v6, v34, v86
	v_fmac_f32_e32 v14, v38, v73
	v_fmac_f32_e32 v35, v33, v81
	v_mul_f32_e32 v33, v44, v86
	v_fma_f32 v38, v44, v85, -v6
	v_mul_f32_e32 v6, v32, v88
	v_fmac_f32_e32 v33, v34, v85
	v_mul_f32_e32 v34, v42, v88
	v_fma_f32 v42, v42, v87, -v6
	v_mul_f32_e32 v6, v29, v90
	v_fmac_f32_e32 v45, v36, v75
	v_fmac_f32_e32 v34, v32, v87
	v_fma_f32 v36, v39, v89, -v6
	v_mul_f32_e32 v32, v15, v92
	v_mul_f32_e32 v6, v27, v92
	v_fmac_f32_e32 v66, v37, v77
	v_mul_f32_e32 v37, v41, v84
	v_fmac_f32_e32 v32, v27, v91
	v_fma_f32 v41, v15, v91, -v6
	v_mul_f32_e32 v27, v40, v94
	v_mul_f32_e32 v6, v30, v94
	v_fmac_f32_e32 v27, v30, v93
	v_fma_f32 v30, v40, v93, -v6
	v_mul_f32_e32 v6, v28, v96
	v_mul_f32_e32 v15, v13, v98
	;; [unrolled: 1-line block ×3, first 2 shown]
	v_add_f32_e32 v44, v65, v67
	v_fmac_f32_e32 v37, v31, v83
	v_mul_f32_e32 v31, v39, v90
	v_fma_f32 v39, v16, v95, -v6
	v_fmac_f32_e32 v15, v25, v97
	v_mul_f32_e32 v6, v25, v98
	v_fma_f32 v25, v61, v101, -v18
	v_mul_f32_e32 v18, v63, v104
	v_add_f32_e32 v40, v50, v65
	v_fmac_f32_e32 v50, -0.5, v44
	v_fmac_f32_e32 v31, v29, v89
	v_mul_f32_e32 v29, v16, v96
	v_fma_f32 v16, v13, v97, -v6
	v_mul_f32_e32 v13, v64, v100
	v_fmac_f32_e32 v18, v52, v103
	v_mul_f32_e32 v26, v52, v104
	v_sub_f32_e32 v44, v69, v71
	v_mov_b32_e32 v52, v50
	v_fmac_f32_e32 v13, v53, v99
	v_mul_f32_e32 v6, v53, v100
	v_add_f32_e32 v40, v40, v67
	v_fmac_f32_e32 v52, 0xbf5db3d7, v44
	v_add_f32_e32 v53, v66, v68
	v_fmac_f32_e32 v29, v28, v95
	v_fma_f32 v28, v64, v99, -v6
	v_mul_f32_e32 v6, v61, v102
	v_fmac_f32_e32 v50, 0x3f5db3d7, v44
	v_add_f32_e32 v44, v11, v66
	v_fma_f32 v11, -0.5, v53, v11
	ds_write2_b32 v57, v40, v52 offset1:65
	ds_write_b32 v57, v50 offset:520
	v_mov_b32_e32 v40, 0x30c
	v_fmac_f32_e32 v6, v59, v101
	v_sub_f32_e32 v53, v70, v72
	v_mov_b32_e32 v59, v11
	v_add_f32_e32 v61, v14, v45
	v_cndmask_b32_e64 v40, 0, v40, s[2:3]
	v_fmac_f32_e32 v59, 0xbf5db3d7, v53
	v_fmac_f32_e32 v11, 0x3f5db3d7, v53
	v_add_f32_e32 v53, v12, v14
	v_fmac_f32_e32 v12, -0.5, v61
	v_add_u32_e32 v40, 0, v40
	v_lshlrev_b32_e32 v50, 2, v105
	v_fma_f32 v26, v63, v103, -v26
	v_add_f32_e32 v44, v44, v68
	v_sub_f32_e32 v61, v47, v48
	v_mov_b32_e32 v63, v12
	v_add3_u32 v40, v40, v50, v60
	v_add_f32_e32 v53, v53, v45
	v_fmac_f32_e32 v63, 0xbf5db3d7, v61
	v_fmac_f32_e32 v12, 0x3f5db3d7, v61
	v_add_f32_e32 v64, v35, v37
	ds_write2_b32 v40, v44, v59 offset1:65
	ds_write_b32 v40, v11 offset:520
	v_add_u32_e32 v11, 0x200, v57
	v_add_f32_e32 v61, v9, v35
	v_fma_f32 v9, -0.5, v64, v9
	ds_write2_b32 v11, v53, v63 offset0:80 offset1:145
	ds_write_b32 v57, v12 offset:1352
	v_mov_b32_e32 v12, 2
	v_sub_f32_e32 v64, v43, v46
	v_mov_b32_e32 v73, v9
	v_mad_u32_u24 v11, v106, s4, 0
	v_lshlrev_b32_sdwa v44, v12, v107 dst_sel:DWORD dst_unused:UNUSED_PAD src0_sel:DWORD src1_sel:BYTE_0
	v_add_f32_e32 v61, v61, v37
	v_fmac_f32_e32 v73, 0xbf5db3d7, v64
	v_fmac_f32_e32 v9, 0x3f5db3d7, v64
	v_add_f32_e32 v74, v33, v34
	v_add3_u32 v53, v11, v44, v60
	v_add_f32_e32 v64, v10, v33
	v_fmac_f32_e32 v10, -0.5, v74
	ds_write2_b32 v53, v61, v73 offset1:65
	ds_write_b32 v53, v9 offset:520
	v_lshlrev_b32_sdwa v9, v12, v108 dst_sel:DWORD dst_unused:UNUSED_PAD src0_sel:DWORD src1_sel:BYTE_0
	v_sub_f32_e32 v74, v38, v42
	v_mov_b32_e32 v75, v10
	v_add3_u32 v59, 0, v9, v60
	v_add_f32_e32 v64, v64, v34
	v_fmac_f32_e32 v75, 0xbf5db3d7, v74
	v_add_f32_e32 v76, v31, v32
	v_add_u32_e32 v9, 0x400, v59
	v_fmac_f32_e32 v10, 0x3f5db3d7, v74
	v_add_f32_e32 v74, v7, v31
	v_fma_f32 v7, -0.5, v76, v7
	ds_write2_b32 v9, v64, v75 offset0:134 offset1:199
	ds_write_b32 v59, v10 offset:2080
	v_lshlrev_b32_sdwa v9, v12, v109 dst_sel:DWORD dst_unused:UNUSED_PAD src0_sel:DWORD src1_sel:BYTE_0
	v_sub_f32_e32 v76, v36, v41
	v_mov_b32_e32 v77, v7
	v_add_f32_e32 v78, v27, v29
	v_add3_u32 v61, 0, v9, v60
	v_add_f32_e32 v74, v74, v32
	v_fmac_f32_e32 v77, 0xbf5db3d7, v76
	v_fmac_f32_e32 v7, 0x3f5db3d7, v76
	v_add_f32_e32 v76, v8, v27
	v_fmac_f32_e32 v8, -0.5, v78
	v_add_u32_e32 v9, 0x800, v61
	v_sub_f32_e32 v78, v30, v39
	v_mov_b32_e32 v79, v8
	v_add_f32_e32 v80, v15, v13
	ds_write2_b32 v9, v74, v77 offset0:73 offset1:138
	ds_write_b32 v61, v7 offset:2860
	v_mad_u32_u24 v7, v110, s4, 0
	v_lshlrev_b32_e32 v9, 2, v111
	v_fmac_f32_e32 v79, 0xbf5db3d7, v78
	v_fmac_f32_e32 v8, 0x3f5db3d7, v78
	v_add_f32_e32 v78, v5, v15
	v_fmac_f32_e32 v5, -0.5, v80
	v_add3_u32 v63, v7, v9, v60
	v_lshlrev_b32_e32 v7, 2, v112
	v_sub_f32_e32 v80, v16, v28
	v_mov_b32_e32 v81, v5
	v_add3_u32 v64, 0, v7, v60
	v_add_f32_e32 v76, v76, v29
	v_add_f32_e32 v78, v78, v13
	v_fmac_f32_e32 v81, 0xbf5db3d7, v80
	v_fmac_f32_e32 v5, 0x3f5db3d7, v80
	v_add_u32_e32 v7, 0xc00, v64
	v_add_u32_e32 v52, 52, v57
	ds_write2_b32 v63, v76, v79 offset1:65
	ds_write_b32 v63, v8 offset:520
	ds_write2_b32 v7, v78, v81 offset0:12 offset1:77
	ds_write_b32 v64, v5 offset:3640
	v_lshlrev_b32_e32 v5, 2, v113
	s_and_saveexec_b64 s[2:3], vcc
	s_cbranch_execz .LBB0_22
; %bb.21:
	v_add_f32_e32 v8, v6, v18
	v_fma_f32 v8, -0.5, v8, v49
	v_sub_f32_e32 v9, v25, v26
	v_mov_b32_e32 v10, v8
	v_add3_u32 v7, 0, v5, v60
	v_fmac_f32_e32 v10, 0x3f5db3d7, v9
	v_fmac_f32_e32 v8, 0xbf5db3d7, v9
	v_add_f32_e32 v9, v49, v6
	v_add_f32_e32 v9, v9, v18
	v_add_u32_e32 v11, 0xc00, v7
	ds_write2_b32 v11, v9, v8 offset0:12 offset1:77
	ds_write_b32 v7, v10 offset:3640
.LBB0_22:
	s_or_b64 exec, exec, s[2:3]
	v_add_f32_e32 v7, v62, v69
	v_add_f32_e32 v73, v7, v71
	v_add_f32_e32 v7, v69, v71
	v_fmac_f32_e32 v62, -0.5, v7
	v_sub_f32_e32 v7, v65, v67
	v_mov_b32_e32 v65, v62
	v_fmac_f32_e32 v65, 0x3f5db3d7, v7
	v_fmac_f32_e32 v62, 0xbf5db3d7, v7
	v_add_f32_e32 v7, v23, v70
	v_add_f32_e32 v67, v7, v72
	v_add_f32_e32 v7, v70, v72
	v_fma_f32 v23, -0.5, v7, v23
	v_sub_f32_e32 v7, v66, v68
	v_mov_b32_e32 v66, v23
	v_fmac_f32_e32 v66, 0x3f5db3d7, v7
	v_fmac_f32_e32 v23, 0xbf5db3d7, v7
	v_add_f32_e32 v7, v24, v47
	v_add_f32_e32 v68, v7, v48
	v_add_f32_e32 v7, v47, v48
	v_fmac_f32_e32 v24, -0.5, v7
	v_sub_f32_e32 v7, v14, v45
	v_mov_b32_e32 v47, v24
	v_fmac_f32_e32 v47, 0x3f5db3d7, v7
	v_fmac_f32_e32 v24, 0xbf5db3d7, v7
	v_add_f32_e32 v7, v21, v43
	v_add_f32_e32 v69, v7, v46
	v_add_f32_e32 v7, v43, v46
	v_fma_f32 v21, -0.5, v7, v21
	v_sub_f32_e32 v7, v35, v37
	v_mov_b32_e32 v70, v21
	v_fmac_f32_e32 v70, 0x3f5db3d7, v7
	v_fmac_f32_e32 v21, 0xbf5db3d7, v7
	v_add_f32_e32 v7, v22, v38
	v_add_f32_e32 v71, v7, v42
	v_add_f32_e32 v7, v38, v42
	v_fmac_f32_e32 v22, -0.5, v7
	v_sub_f32_e32 v7, v33, v34
	v_mov_b32_e32 v33, v22
	v_fmac_f32_e32 v33, 0x3f5db3d7, v7
	v_fmac_f32_e32 v22, 0xbf5db3d7, v7
	v_add_f32_e32 v7, v19, v36
	v_add_f32_e32 v34, v7, v41
	v_add_f32_e32 v7, v36, v41
	v_fma_f32 v19, -0.5, v7, v19
	v_sub_f32_e32 v7, v31, v32
	v_mov_b32_e32 v31, v19
	v_fmac_f32_e32 v31, 0x3f5db3d7, v7
	v_fmac_f32_e32 v19, 0xbf5db3d7, v7
	v_add_f32_e32 v7, v20, v30
	v_add_f32_e32 v32, v7, v39
	;; [unrolled: 1-line block ×3, first 2 shown]
	v_fmac_f32_e32 v20, -0.5, v7
	v_sub_f32_e32 v7, v27, v29
	v_mov_b32_e32 v39, v20
	v_fmac_f32_e32 v39, 0x3f5db3d7, v7
	v_fmac_f32_e32 v20, 0xbf5db3d7, v7
	v_add_f32_e32 v7, v17, v16
	v_add_f32_e32 v41, v7, v28
	;; [unrolled: 1-line block ×3, first 2 shown]
	v_fmac_f32_e32 v17, -0.5, v7
	v_sub_f32_e32 v7, v15, v13
	v_mov_b32_e32 v42, v17
	v_fmac_f32_e32 v42, 0x3f5db3d7, v7
	v_fmac_f32_e32 v17, 0xbf5db3d7, v7
	v_add_u32_e32 v35, 0x400, v57
	v_add_u32_e32 v36, 0x800, v57
	;; [unrolled: 1-line block ×4, first 2 shown]
	s_waitcnt lgkmcnt(0)
	s_barrier
	ds_read_b32 v50, v1
	ds_read2_b32 v[13:14], v57 offset0:195 offset1:234
	ds_read2_b32 v[11:12], v35 offset0:95 offset1:134
	;; [unrolled: 1-line block ×10, first 2 shown]
	v_add_u32_e32 v35, 0x600, v57
	ds_read2_b32 v[35:36], v35 offset0:123 offset1:162
	ds_read2_b32 v[37:38], v37 offset0:129 offset1:168
	s_waitcnt lgkmcnt(0)
	s_barrier
	ds_write2_b32 v57, v73, v65 offset1:65
	ds_write_b32 v57, v62 offset:520
	ds_write2_b32 v40, v67, v66 offset1:65
	ds_write_b32 v40, v23 offset:520
	v_add_u32_e32 v23, 0x200, v52
	ds_write2_b32 v23, v68, v47 offset0:67 offset1:132
	ds_write_b32 v52, v24 offset:1300
	ds_write2_b32 v53, v69, v70 offset1:65
	ds_write_b32 v53, v21 offset:520
	v_add_u32_e32 v21, 0x400, v59
	ds_write2_b32 v21, v71, v33 offset0:134 offset1:199
	ds_write_b32 v59, v22 offset:2080
	v_add_u32_e32 v21, 0x800, v61
	ds_write2_b32 v21, v34, v31 offset0:73 offset1:138
	ds_write_b32 v61, v19 offset:2860
	ds_write2_b32 v63, v32, v39 offset1:65
	ds_write_b32 v63, v20 offset:520
	v_add_u32_e32 v19, 0xc00, v64
	ds_write2_b32 v19, v41, v42 offset0:12 offset1:77
	ds_write_b32 v64, v17 offset:3640
	s_and_saveexec_b64 s[2:3], vcc
	s_cbranch_execz .LBB0_24
; %bb.23:
	v_add_f32_e32 v19, v25, v26
	v_add_f32_e32 v17, v51, v25
	v_fmac_f32_e32 v51, -0.5, v19
	v_sub_f32_e32 v6, v6, v18
	v_mov_b32_e32 v18, v51
	v_add3_u32 v5, 0, v5, v60
	v_add_f32_e32 v17, v17, v26
	v_fmac_f32_e32 v18, 0x3f5db3d7, v6
	v_fmac_f32_e32 v51, 0xbf5db3d7, v6
	v_add_u32_e32 v6, 0xc00, v5
	ds_write2_b32 v6, v17, v18 offset0:12 offset1:77
	ds_write_b32 v5, v51 offset:3640
.LBB0_24:
	s_or_b64 exec, exec, s[2:3]
	s_waitcnt lgkmcnt(0)
	s_barrier
	s_and_saveexec_b64 s[2:3], s[0:1]
	s_cbranch_execz .LBB0_26
; %bb.25:
	v_lshlrev_b32_e32 v5, 2, v54
	v_mov_b32_e32 v6, 0
	v_lshlrev_b64 v[17:18], 3, v[5:6]
	v_mov_b32_e32 v51, s9
	v_add_co_u32_e32 v25, vcc, s8, v17
	v_addc_co_u32_e32 v26, vcc, v51, v18, vcc
	global_load_dwordx4 v[17:20], v[25:26], off offset:1456
	global_load_dwordx4 v[21:24], v[25:26], off offset:1472
	v_add_u32_e32 v5, 0x600, v57
	v_add_u32_e32 v79, 0x400, v57
	;; [unrolled: 1-line block ×4, first 2 shown]
	ds_read2_b32 v[52:53], v57 offset0:117 offset1:156
	ds_read2_b32 v[71:72], v5 offset0:123 offset1:162
	;; [unrolled: 1-line block ×5, first 2 shown]
	v_lshlrev_b32_e32 v5, 2, v55
	v_lshlrev_b64 v[25:26], 3, v[5:6]
	s_mov_b32 s1, 0x50150151
	v_add_co_u32_e32 v25, vcc, s8, v25
	v_addc_co_u32_e32 v26, vcc, v51, v26, vcc
	global_load_dwordx4 v[39:42], v[25:26], off offset:1472
	global_load_dwordx4 v[59:62], v[25:26], off offset:1456
	ds_read2_b32 v[75:76], v79 offset0:17 offset1:56
	s_movk_i32 s0, 0x1000
	s_waitcnt vmcnt(3)
	v_mul_f32_e32 v25, v11, v18
	v_mul_f32_e32 v5, v36, v20
	s_waitcnt vmcnt(2)
	v_mul_f32_e32 v26, v15, v22
	s_waitcnt lgkmcnt(3)
	v_mul_f32_e32 v65, v31, v18
	v_fma_f32 v18, v31, v17, -v25
	v_mul_f32_e32 v47, v38, v24
	s_waitcnt lgkmcnt(2)
	v_mul_f32_e32 v64, v33, v22
	s_waitcnt lgkmcnt(1)
	v_mul_f32_e32 v66, v74, v24
	v_fma_f32 v5, v72, v19, -v5
	v_fma_f32 v25, v33, v21, -v26
	v_add_f32_e32 v33, v18, v53
	v_mul_f32_e32 v63, v72, v20
	v_fma_f32 v26, v74, v23, -v47
	v_fmac_f32_e32 v65, v11, v17
	v_fmac_f32_e32 v66, v38, v23
	v_sub_f32_e32 v11, v5, v18
	v_sub_f32_e32 v20, v18, v5
	v_add_f32_e32 v23, v5, v25
	v_sub_f32_e32 v67, v5, v25
	v_add_f32_e32 v5, v5, v33
	v_add_f32_e32 v5, v25, v5
	v_fmac_f32_e32 v63, v36, v19
	v_fmac_f32_e32 v64, v15, v21
	v_sub_f32_e32 v15, v25, v26
	v_add_f32_e32 v19, v18, v26
	v_sub_f32_e32 v21, v26, v25
	v_sub_f32_e32 v47, v18, v26
	v_add_f32_e32 v26, v26, v5
	v_add_f32_e32 v5, v49, v65
	;; [unrolled: 1-line block ×5, first 2 shown]
	v_fma_f32 v24, -0.5, v23, v53
	v_add_f32_e32 v25, v5, v66
	v_lshlrev_b32_e32 v5, 2, v56
	v_sub_f32_e32 v17, v63, v64
	v_sub_f32_e32 v31, v65, v66
	v_sub_f32_e32 v36, v63, v65
	v_sub_f32_e32 v38, v64, v66
	v_sub_f32_e32 v68, v65, v63
	v_sub_f32_e32 v69, v66, v64
	v_add_f32_e32 v70, v63, v64
	v_add_f32_e32 v11, v11, v15
	v_fma_f32 v22, -0.5, v19, v53
	v_add_f32_e32 v15, v20, v21
	v_fma_f32 v21, -0.5, v18, v49
	v_mov_b32_e32 v18, v24
	v_lshlrev_b64 v[63:64], 3, v[5:6]
	v_fma_f32 v23, -0.5, v70, v49
	v_mov_b32_e32 v20, v22
	v_fmac_f32_e32 v24, 0x3f737871, v31
	v_fmac_f32_e32 v18, 0xbf737871, v31
	;; [unrolled: 1-line block ×6, first 2 shown]
	v_mov_b32_e32 v17, v23
	v_add_co_u32_e32 v77, vcc, s8, v63
	v_mov_b32_e32 v19, v21
	v_fmac_f32_e32 v17, 0x3f737871, v47
	v_fmac_f32_e32 v23, 0xbf737871, v47
	v_addc_co_u32_e32 v78, vcc, v51, v64, vcc
	v_add_f32_e32 v33, v36, v38
	v_add_f32_e32 v36, v68, v69
	v_fmac_f32_e32 v21, 0x3f737871, v67
	v_fmac_f32_e32 v19, 0xbf737871, v67
	;; [unrolled: 1-line block ×4, first 2 shown]
	global_load_dwordx4 v[63:66], v[77:78], off offset:1472
	global_load_dwordx4 v[67:70], v[77:78], off offset:1456
	v_fmac_f32_e32 v24, 0x3e9e377a, v15
	v_fmac_f32_e32 v18, 0x3e9e377a, v15
	v_add_u32_e32 v15, 0x800, v57
	ds_read2_b32 v[77:78], v15 offset0:151 offset1:190
	v_fmac_f32_e32 v22, 0x3f167918, v31
	v_fmac_f32_e32 v21, 0xbf167918, v47
	;; [unrolled: 1-line block ×10, first 2 shown]
	s_waitcnt vmcnt(2)
	v_mul_f32_e32 v5, v46, v60
	v_mul_f32_e32 v11, v35, v62
	;; [unrolled: 1-line block ×4, first 2 shown]
	s_waitcnt lgkmcnt(1)
	v_fma_f32 v5, v76, v59, -v5
	v_fma_f32 v11, v71, v61, -v11
	v_fma_f32 v33, v73, v41, -v33
	s_waitcnt lgkmcnt(0)
	v_fma_f32 v47, v78, v39, -v36
	v_mul_f32_e32 v49, v76, v60
	v_mul_f32_e32 v60, v78, v40
	v_fmac_f32_e32 v49, v46, v59
	v_mul_f32_e32 v46, v73, v42
	v_mul_f32_e32 v59, v71, v62
	v_fmac_f32_e32 v60, v44, v39
	v_sub_f32_e32 v39, v11, v5
	v_sub_f32_e32 v40, v47, v33
	;; [unrolled: 1-line block ×4, first 2 shown]
	v_fmac_f32_e32 v46, v37, v41
	v_fmac_f32_e32 v59, v35, v61
	v_sub_f32_e32 v62, v5, v33
	v_add_f32_e32 v72, v39, v40
	v_add_f32_e32 v39, v5, v33
	;; [unrolled: 1-line block ×5, first 2 shown]
	v_sub_f32_e32 v35, v49, v59
	v_sub_f32_e32 v37, v46, v60
	v_fma_f32 v42, -0.5, v39, v52
	v_sub_f32_e32 v39, v59, v49
	v_sub_f32_e32 v41, v60, v46
	v_add_f32_e32 v5, v11, v5
	v_fma_f32 v38, -0.5, v36, v52
	v_sub_f32_e32 v44, v59, v60
	v_add_f32_e32 v61, v35, v37
	v_add_f32_e32 v35, v59, v60
	v_mov_b32_e32 v40, v42
	v_add_f32_e32 v73, v39, v41
	v_add_f32_e32 v39, v49, v46
	;; [unrolled: 1-line block ×3, first 2 shown]
	v_sub_f32_e32 v53, v49, v46
	v_mov_b32_e32 v36, v38
	v_fma_f32 v37, -0.5, v35, v48
	v_sub_f32_e32 v71, v11, v47
	v_fmac_f32_e32 v40, 0x3f737871, v44
	v_fma_f32 v41, -0.5, v39, v48
	v_fmac_f32_e32 v42, 0xbf737871, v44
	v_add_f32_e32 v47, v33, v5
	v_add_f32_e32 v5, v48, v49
	ds_read2_b32 v[48:49], v79 offset0:173 offset1:212
	v_fmac_f32_e32 v36, 0xbf737871, v53
	v_fmac_f32_e32 v40, 0xbf167918, v53
	;; [unrolled: 1-line block ×4, first 2 shown]
	v_add_f32_e32 v5, v5, v59
	ds_read2_b32 v[52:53], v80 offset0:51 offset1:90
	v_add_f32_e32 v5, v5, v60
	v_add_f32_e32 v46, v46, v5
	v_mov_b32_e32 v39, v41
	v_mov_b32_e32 v35, v37
	v_fmac_f32_e32 v39, 0xbf737871, v71
	v_fmac_f32_e32 v41, 0x3f737871, v71
	;; [unrolled: 1-line block ×5, first 2 shown]
	s_waitcnt vmcnt(0)
	v_mul_f32_e32 v5, v45, v68
	v_fma_f32 v11, v75, v67, -v5
	v_mul_f32_e32 v5, v30, v70
	s_waitcnt lgkmcnt(1)
	v_fma_f32 v33, v49, v69, -v5
	v_mul_f32_e32 v5, v28, v66
	v_fmac_f32_e32 v37, 0xbf737871, v62
	s_waitcnt lgkmcnt(0)
	v_fma_f32 v62, v53, v65, -v5
	v_lshlrev_b32_e32 v5, 2, v58
	v_lshlrev_b64 v[58:59], 3, v[5:6]
	v_fmac_f32_e32 v35, 0x3f167918, v71
	v_add_co_u32_e32 v78, vcc, s8, v58
	v_fmac_f32_e32 v37, 0xbf167918, v71
	v_addc_co_u32_e32 v79, vcc, v51, v59, vcc
	v_fmac_f32_e32 v35, 0x3e9e377a, v61
	v_fmac_f32_e32 v40, 0x3e9e377a, v72
	;; [unrolled: 1-line block ×6, first 2 shown]
	global_load_dwordx4 v[58:61], v[78:79], off offset:1472
	global_load_dwordx4 v[71:74], v[78:79], off offset:1456
	ds_read2_b32 v[78:79], v57 offset0:39 offset1:78
	v_mul_f32_e32 v5, v43, v64
	v_fma_f32 v5, v77, v63, -v5
	v_mul_f32_e32 v68, v75, v68
	v_mul_f32_e32 v49, v49, v70
	v_fmac_f32_e32 v36, 0xbf167918, v44
	v_fmac_f32_e32 v38, 0x3f167918, v44
	;; [unrolled: 1-line block ×3, first 2 shown]
	v_mul_f32_e32 v45, v53, v66
	v_fmac_f32_e32 v49, v30, v69
	v_sub_f32_e32 v67, v33, v11
	v_sub_f32_e32 v69, v5, v62
	v_fmac_f32_e32 v36, 0x3e9e377a, v31
	v_fmac_f32_e32 v38, 0x3e9e377a, v31
	v_sub_f32_e32 v31, v11, v33
	v_fmac_f32_e32 v45, v28, v65
	v_mul_f32_e32 v53, v77, v64
	v_sub_f32_e32 v65, v11, v62
	v_add_f32_e32 v67, v67, v69
	v_add_f32_e32 v69, v11, v62
	s_waitcnt lgkmcnt(0)
	v_add_f32_e32 v11, v11, v79
	v_sub_f32_e32 v44, v62, v5
	v_fmac_f32_e32 v53, v43, v63
	v_add_f32_e32 v11, v33, v11
	v_add_f32_e32 v82, v31, v44
	;; [unrolled: 1-line block ×3, first 2 shown]
	v_sub_f32_e32 v30, v68, v49
	v_sub_f32_e32 v43, v45, v53
	;; [unrolled: 1-line block ×3, first 2 shown]
	v_fma_f32 v76, -0.5, v69, v79
	v_sub_f32_e32 v69, v49, v68
	v_sub_f32_e32 v70, v53, v45
	v_add_f32_e32 v5, v5, v11
	v_add_f32_e32 v64, v30, v43
	;; [unrolled: 1-line block ×7, first 2 shown]
	v_fma_f32 v30, -0.5, v30, v8
	v_fma_f32 v75, -0.5, v70, v8
	v_add_f32_e32 v8, v5, v49
	v_mov_b32_e32 v5, v6
	v_lshlrev_b64 v[4:5], 3, v[4:5]
	v_fma_f32 v31, -0.5, v31, v79
	v_sub_f32_e32 v63, v49, v53
	v_mov_b32_e32 v43, v30
	v_mov_b32_e32 v81, v76
	;; [unrolled: 1-line block ×3, first 2 shown]
	v_sub_f32_e32 v28, v68, v45
	v_mov_b32_e32 v44, v31
	v_fmac_f32_e32 v43, 0x3f737871, v65
	v_fmac_f32_e32 v81, 0x3f737871, v63
	;; [unrolled: 1-line block ×6, first 2 shown]
	v_add_co_u32_e32 v4, vcc, s8, v4
	v_fmac_f32_e32 v44, 0xbf737871, v28
	v_fmac_f32_e32 v43, 0x3f167918, v66
	;; [unrolled: 1-line block ×8, first 2 shown]
	v_addc_co_u32_e32 v5, vcc, v51, v5, vcc
	v_fmac_f32_e32 v44, 0xbf167918, v63
	v_fmac_f32_e32 v43, 0x3e9e377a, v64
	;; [unrolled: 1-line block ×8, first 2 shown]
	ds_read2_b32 v[84:85], v57 offset0:195 offset1:234
	global_load_dwordx4 v[62:65], v[4:5], off offset:1472
	global_load_dwordx4 v[66:69], v[4:5], off offset:1456
	v_add_f32_e32 v4, v8, v53
	v_fmac_f32_e32 v44, 0x3e9e377a, v82
	v_fmac_f32_e32 v31, 0x3e9e377a, v82
	v_add_f32_e32 v82, v45, v4
	s_waitcnt vmcnt(2)
	v_mul_f32_e32 v4, v14, v72
	s_waitcnt lgkmcnt(0)
	v_fma_f32 v8, v85, v71, -v4
	v_mul_f32_e32 v4, v29, v74
	v_fma_f32 v33, v48, v73, -v4
	ds_read2_b32 v[4:5], v15 offset0:73 offset1:112
	v_mul_f32_e32 v15, v27, v61
	v_fma_f32 v45, v52, v60, -v15
	v_mul_f32_e32 v52, v52, v61
	v_mul_f32_e32 v15, v10, v59
	v_fmac_f32_e32 v52, v27, v60
	v_add_f32_e32 v27, v8, v78
	s_waitcnt lgkmcnt(0)
	v_fma_f32 v49, v5, v58, -v15
	v_mul_f32_e32 v53, v85, v72
	v_add_f32_e32 v27, v33, v27
	v_mul_f32_e32 v48, v48, v74
	v_mul_f32_e32 v5, v5, v59
	v_fmac_f32_e32 v53, v14, v71
	v_add_f32_e32 v27, v49, v27
	v_sub_f32_e32 v11, v8, v33
	v_sub_f32_e32 v15, v45, v49
	v_fmac_f32_e32 v48, v29, v73
	v_fmac_f32_e32 v5, v10, v58
	v_add_f32_e32 v10, v33, v49
	v_add_f32_e32 v28, v45, v27
	;; [unrolled: 1-line block ×4, first 2 shown]
	v_fma_f32 v11, -0.5, v10, v78
	v_sub_f32_e32 v10, v53, v48
	v_sub_f32_e32 v14, v52, v5
	;; [unrolled: 1-line block ×4, first 2 shown]
	v_add_f32_e32 v27, v27, v48
	v_sub_f32_e32 v33, v33, v8
	v_add_f32_e32 v8, v8, v45
	v_sub_f32_e32 v29, v48, v5
	v_add_f32_e32 v58, v10, v14
	v_add_f32_e32 v10, v48, v5
	;; [unrolled: 1-line block ×3, first 2 shown]
	v_fmac_f32_e32 v78, -0.5, v8
	v_sub_f32_e32 v8, v48, v53
	v_sub_f32_e32 v5, v5, v52
	v_add_f32_e32 v5, v8, v5
	v_add_f32_e32 v8, v53, v52
	v_fma_f32 v10, -0.5, v10, v7
	v_fmac_f32_e32 v7, -0.5, v8
	v_mov_b32_e32 v48, v7
	v_sub_f32_e32 v57, v53, v52
	v_mov_b32_e32 v15, v11
	v_fmac_f32_e32 v48, 0xbf737871, v60
	v_fmac_f32_e32 v7, 0x3f737871, v60
	;; [unrolled: 1-line block ×3, first 2 shown]
	v_mov_b32_e32 v14, v10
	v_sub_f32_e32 v49, v49, v45
	v_fmac_f32_e32 v11, 0xbf737871, v57
	v_fmac_f32_e32 v48, 0x3f167918, v59
	;; [unrolled: 1-line block ×5, first 2 shown]
	v_add_f32_e32 v33, v33, v49
	v_mov_b32_e32 v49, v78
	v_fmac_f32_e32 v11, 0xbf167918, v29
	v_fmac_f32_e32 v48, 0x3e9e377a, v5
	;; [unrolled: 1-line block ×11, first 2 shown]
	v_add_f32_e32 v27, v52, v27
	v_fmac_f32_e32 v49, 0xbf167918, v57
	v_fmac_f32_e32 v78, 0x3f167918, v57
	s_waitcnt vmcnt(1)
	v_mul_f32_e32 v8, v16, v65
	s_waitcnt vmcnt(0)
	v_mul_f32_e32 v5, v13, v67
	v_fma_f32 v29, v84, v66, -v5
	v_mul_f32_e32 v5, v12, v69
	v_fma_f32 v51, v34, v64, -v8
	v_mul_f32_e32 v8, v9, v63
	v_fmac_f32_e32 v10, 0x3e9e377a, v58
	v_fma_f32 v45, v32, v68, -v5
	ds_read_b32 v1, v1
	v_fma_f32 v52, v4, v62, -v8
	v_mul_f32_e32 v57, v84, v67
	v_mul_f32_e32 v34, v34, v65
	;; [unrolled: 1-line block ×4, first 2 shown]
	v_sub_f32_e32 v5, v29, v45
	v_sub_f32_e32 v8, v51, v52
	v_fmac_f32_e32 v57, v13, v66
	v_fmac_f32_e32 v34, v16, v64
	;; [unrolled: 1-line block ×4, first 2 shown]
	v_add_f32_e32 v53, v5, v8
	v_sub_f32_e32 v4, v57, v58
	v_sub_f32_e32 v8, v34, v59
	v_add_f32_e32 v61, v4, v8
	v_sub_f32_e32 v8, v45, v29
	v_sub_f32_e32 v9, v52, v51
	v_add_f32_e32 v5, v45, v52
	v_add_f32_e32 v64, v8, v9
	;; [unrolled: 1-line block ×3, first 2 shown]
	s_waitcnt lgkmcnt(0)
	v_fma_f32 v5, -0.5, v5, v1
	v_fma_f32 v9, -0.5, v8, v1
	v_add_f32_e32 v1, v29, v1
	v_add_f32_e32 v1, v45, v1
	;; [unrolled: 1-line block ×3, first 2 shown]
	v_sub_f32_e32 v62, v29, v51
	v_add_f32_e32 v51, v51, v1
	v_add_f32_e32 v1, v50, v57
	v_sub_f32_e32 v8, v58, v57
	v_sub_f32_e32 v32, v59, v34
	v_add_f32_e32 v1, v1, v58
	v_fmac_f32_e32 v49, 0x3e9e377a, v33
	v_fmac_f32_e32 v78, 0x3e9e377a, v33
	v_sub_f32_e32 v60, v58, v59
	v_add_f32_e32 v4, v58, v59
	v_mov_b32_e32 v33, v9
	v_add_f32_e32 v65, v8, v32
	v_add_f32_e32 v8, v57, v34
	;; [unrolled: 1-line block ×3, first 2 shown]
	v_sub_f32_e32 v16, v57, v34
	v_mov_b32_e32 v13, v5
	v_fma_f32 v4, -0.5, v4, v50
	v_fmac_f32_e32 v33, 0x3f737871, v60
	v_fma_f32 v8, -0.5, v8, v50
	v_fmac_f32_e32 v9, 0xbf737871, v60
	v_add_f32_e32 v50, v34, v1
	v_mov_b32_e32 v1, v6
	v_fmac_f32_e32 v13, 0xbf737871, v16
	v_fmac_f32_e32 v33, 0xbf167918, v16
	;; [unrolled: 1-line block ×4, first 2 shown]
	v_mov_b32_e32 v16, s13
	v_add_co_u32_e32 v2, vcc, s12, v2
	v_lshlrev_b64 v[0:1], 3, v[0:1]
	v_mov_b32_e32 v12, v4
	v_sub_f32_e32 v63, v45, v52
	v_fmac_f32_e32 v4, 0xbf737871, v62
	v_addc_co_u32_e32 v3, vcc, v16, v3, vcc
	v_mov_b32_e32 v32, v8
	v_fmac_f32_e32 v8, 0x3f737871, v63
	v_fmac_f32_e32 v4, 0xbf167918, v63
	v_add_co_u32_e32 v0, vcc, v2, v0
	v_fmac_f32_e32 v8, 0xbf167918, v62
	v_fmac_f32_e32 v5, 0x3f167918, v60
	;; [unrolled: 1-line block ×3, first 2 shown]
	v_addc_co_u32_e32 v1, vcc, v3, v1, vcc
	v_fmac_f32_e32 v9, 0x3e9e377a, v64
	v_fmac_f32_e32 v8, 0x3e9e377a, v65
	;; [unrolled: 1-line block ×3, first 2 shown]
	global_store_dwordx2 v[0:1], v[50:51], off
	global_store_dwordx2 v[0:1], v[4:5], off offset:1560
	global_store_dwordx2 v[0:1], v[8:9], off offset:3120
	v_mul_hi_u32 v4, v56, s1
	v_fmac_f32_e32 v32, 0xbf737871, v63
	v_fmac_f32_e32 v12, 0x3f737871, v62
	;; [unrolled: 1-line block ×3, first 2 shown]
	v_add_co_u32_e32 v2, vcc, s0, v0
	v_fmac_f32_e32 v13, 0xbf167918, v60
	v_fmac_f32_e32 v12, 0x3f167918, v63
	;; [unrolled: 1-line block ×4, first 2 shown]
	v_addc_co_u32_e32 v3, vcc, 0, v1, vcc
	v_mov_b32_e32 v8, v78
	v_fmac_f32_e32 v13, 0x3e9e377a, v53
	v_fmac_f32_e32 v12, 0x3e9e377a, v61
	global_store_dwordx2 v[2:3], v[32:33], off offset:584
	global_store_dwordx2 v[2:3], v[12:13], off offset:2144
	global_store_dwordx2 v[0:1], v[27:28], off offset:312
	global_store_dwordx2 v[0:1], v[14:15], off offset:1872
	global_store_dwordx2 v[0:1], v[7:8], off offset:3432
	global_store_dwordx2 v[2:3], v[48:49], off offset:896
	global_store_dwordx2 v[2:3], v[10:11], off offset:2456
	v_sub_u32_e32 v2, v56, v4
	v_lshrrev_b32_e32 v2, 1, v2
	v_add_u32_e32 v2, v2, v4
	v_lshrrev_b32_e32 v2, 7, v2
	v_mul_u32_u24_e32 v5, 0x30c, v2
	v_lshlrev_b64 v[2:3], 3, v[5:6]
	v_mul_hi_u32 v4, v55, s1
	v_add_co_u32_e32 v2, vcc, v0, v2
	v_addc_co_u32_e32 v3, vcc, v1, v3, vcc
	global_store_dwordx2 v[2:3], v[82:83], off offset:624
	global_store_dwordx2 v[2:3], v[30:31], off offset:2184
	global_store_dwordx2 v[2:3], v[75:76], off offset:3744
	v_add_co_u32_e32 v2, vcc, s0, v2
	v_addc_co_u32_e32 v3, vcc, 0, v3, vcc
	global_store_dwordx2 v[2:3], v[80:81], off offset:1208
	global_store_dwordx2 v[2:3], v[43:44], off offset:2768
	v_sub_u32_e32 v2, v55, v4
	v_lshrrev_b32_e32 v2, 1, v2
	v_add_u32_e32 v2, v2, v4
	v_lshrrev_b32_e32 v2, 7, v2
	v_mul_u32_u24_e32 v5, 0x30c, v2
	v_lshlrev_b64 v[2:3], 3, v[5:6]
	v_mul_hi_u32 v4, v54, s1
	v_add_co_u32_e32 v2, vcc, v0, v2
	v_addc_co_u32_e32 v3, vcc, v1, v3, vcc
	global_store_dwordx2 v[2:3], v[46:47], off offset:936
	global_store_dwordx2 v[2:3], v[37:38], off offset:2496
	;; [unrolled: 1-line block ×3, first 2 shown]
	v_add_co_u32_e32 v2, vcc, s0, v2
	v_addc_co_u32_e32 v3, vcc, 0, v3, vcc
	global_store_dwordx2 v[2:3], v[39:40], off offset:1520
	global_store_dwordx2 v[2:3], v[35:36], off offset:3080
	v_sub_u32_e32 v2, v54, v4
	v_lshrrev_b32_e32 v2, 1, v2
	v_add_u32_e32 v2, v2, v4
	v_lshrrev_b32_e32 v2, 7, v2
	v_mul_u32_u24_e32 v5, 0x30c, v2
	v_lshlrev_b64 v[2:3], 3, v[5:6]
	v_add_co_u32_e32 v0, vcc, v0, v2
	v_addc_co_u32_e32 v1, vcc, v1, v3, vcc
	v_add_co_u32_e32 v2, vcc, 0x4e0, v0
	v_addc_co_u32_e32 v3, vcc, 0, v1, vcc
	global_store_dwordx2 v[0:1], v[25:26], off offset:1248
	global_store_dwordx2 v[0:1], v[23:24], off offset:2808
	;; [unrolled: 1-line block ×3, first 2 shown]
	v_add_co_u32_e32 v0, vcc, 0x1000, v0
	v_addc_co_u32_e32 v1, vcc, 0, v1, vcc
	global_store_dwordx2 v[0:1], v[19:20], off offset:1832
	global_store_dwordx2 v[0:1], v[17:18], off offset:3392
.LBB0_26:
	s_endpgm
	.section	.rodata,"a",@progbits
	.p2align	6, 0x0
	.amdhsa_kernel fft_rtc_back_len975_factors_13_5_3_5_wgs_117_tpt_39_halfLds_sp_ip_CI_unitstride_sbrr_dirReg
		.amdhsa_group_segment_fixed_size 0
		.amdhsa_private_segment_fixed_size 0
		.amdhsa_kernarg_size 88
		.amdhsa_user_sgpr_count 6
		.amdhsa_user_sgpr_private_segment_buffer 1
		.amdhsa_user_sgpr_dispatch_ptr 0
		.amdhsa_user_sgpr_queue_ptr 0
		.amdhsa_user_sgpr_kernarg_segment_ptr 1
		.amdhsa_user_sgpr_dispatch_id 0
		.amdhsa_user_sgpr_flat_scratch_init 0
		.amdhsa_user_sgpr_private_segment_size 0
		.amdhsa_uses_dynamic_stack 0
		.amdhsa_system_sgpr_private_segment_wavefront_offset 0
		.amdhsa_system_sgpr_workgroup_id_x 1
		.amdhsa_system_sgpr_workgroup_id_y 0
		.amdhsa_system_sgpr_workgroup_id_z 0
		.amdhsa_system_sgpr_workgroup_info 0
		.amdhsa_system_vgpr_workitem_id 0
		.amdhsa_next_free_vgpr 134
		.amdhsa_next_free_sgpr 22
		.amdhsa_reserve_vcc 1
		.amdhsa_reserve_flat_scratch 0
		.amdhsa_float_round_mode_32 0
		.amdhsa_float_round_mode_16_64 0
		.amdhsa_float_denorm_mode_32 3
		.amdhsa_float_denorm_mode_16_64 3
		.amdhsa_dx10_clamp 1
		.amdhsa_ieee_mode 1
		.amdhsa_fp16_overflow 0
		.amdhsa_exception_fp_ieee_invalid_op 0
		.amdhsa_exception_fp_denorm_src 0
		.amdhsa_exception_fp_ieee_div_zero 0
		.amdhsa_exception_fp_ieee_overflow 0
		.amdhsa_exception_fp_ieee_underflow 0
		.amdhsa_exception_fp_ieee_inexact 0
		.amdhsa_exception_int_div_zero 0
	.end_amdhsa_kernel
	.text
.Lfunc_end0:
	.size	fft_rtc_back_len975_factors_13_5_3_5_wgs_117_tpt_39_halfLds_sp_ip_CI_unitstride_sbrr_dirReg, .Lfunc_end0-fft_rtc_back_len975_factors_13_5_3_5_wgs_117_tpt_39_halfLds_sp_ip_CI_unitstride_sbrr_dirReg
                                        ; -- End function
	.section	.AMDGPU.csdata,"",@progbits
; Kernel info:
; codeLenInByte = 15884
; NumSgprs: 26
; NumVgprs: 134
; ScratchSize: 0
; MemoryBound: 0
; FloatMode: 240
; IeeeMode: 1
; LDSByteSize: 0 bytes/workgroup (compile time only)
; SGPRBlocks: 3
; VGPRBlocks: 33
; NumSGPRsForWavesPerEU: 26
; NumVGPRsForWavesPerEU: 134
; Occupancy: 1
; WaveLimiterHint : 1
; COMPUTE_PGM_RSRC2:SCRATCH_EN: 0
; COMPUTE_PGM_RSRC2:USER_SGPR: 6
; COMPUTE_PGM_RSRC2:TRAP_HANDLER: 0
; COMPUTE_PGM_RSRC2:TGID_X_EN: 1
; COMPUTE_PGM_RSRC2:TGID_Y_EN: 0
; COMPUTE_PGM_RSRC2:TGID_Z_EN: 0
; COMPUTE_PGM_RSRC2:TIDIG_COMP_CNT: 0
	.type	__hip_cuid_ea9d114af3d593c7,@object ; @__hip_cuid_ea9d114af3d593c7
	.section	.bss,"aw",@nobits
	.globl	__hip_cuid_ea9d114af3d593c7
__hip_cuid_ea9d114af3d593c7:
	.byte	0                               ; 0x0
	.size	__hip_cuid_ea9d114af3d593c7, 1

	.ident	"AMD clang version 19.0.0git (https://github.com/RadeonOpenCompute/llvm-project roc-6.4.0 25133 c7fe45cf4b819c5991fe208aaa96edf142730f1d)"
	.section	".note.GNU-stack","",@progbits
	.addrsig
	.addrsig_sym __hip_cuid_ea9d114af3d593c7
	.amdgpu_metadata
---
amdhsa.kernels:
  - .args:
      - .actual_access:  read_only
        .address_space:  global
        .offset:         0
        .size:           8
        .value_kind:     global_buffer
      - .offset:         8
        .size:           8
        .value_kind:     by_value
      - .actual_access:  read_only
        .address_space:  global
        .offset:         16
        .size:           8
        .value_kind:     global_buffer
      - .actual_access:  read_only
        .address_space:  global
        .offset:         24
        .size:           8
        .value_kind:     global_buffer
      - .offset:         32
        .size:           8
        .value_kind:     by_value
      - .actual_access:  read_only
        .address_space:  global
        .offset:         40
        .size:           8
        .value_kind:     global_buffer
      - .actual_access:  read_only
        .address_space:  global
        .offset:         48
        .size:           8
        .value_kind:     global_buffer
      - .offset:         56
        .size:           4
        .value_kind:     by_value
      - .actual_access:  read_only
        .address_space:  global
        .offset:         64
        .size:           8
        .value_kind:     global_buffer
      - .actual_access:  read_only
        .address_space:  global
        .offset:         72
        .size:           8
        .value_kind:     global_buffer
      - .address_space:  global
        .offset:         80
        .size:           8
        .value_kind:     global_buffer
    .group_segment_fixed_size: 0
    .kernarg_segment_align: 8
    .kernarg_segment_size: 88
    .language:       OpenCL C
    .language_version:
      - 2
      - 0
    .max_flat_workgroup_size: 117
    .name:           fft_rtc_back_len975_factors_13_5_3_5_wgs_117_tpt_39_halfLds_sp_ip_CI_unitstride_sbrr_dirReg
    .private_segment_fixed_size: 0
    .sgpr_count:     26
    .sgpr_spill_count: 0
    .symbol:         fft_rtc_back_len975_factors_13_5_3_5_wgs_117_tpt_39_halfLds_sp_ip_CI_unitstride_sbrr_dirReg.kd
    .uniform_work_group_size: 1
    .uses_dynamic_stack: false
    .vgpr_count:     134
    .vgpr_spill_count: 0
    .wavefront_size: 64
amdhsa.target:   amdgcn-amd-amdhsa--gfx906
amdhsa.version:
  - 1
  - 2
...

	.end_amdgpu_metadata
